;; amdgpu-corpus repo=ROCm/rocFFT kind=compiled arch=gfx1030 opt=O3
	.text
	.amdgcn_target "amdgcn-amd-amdhsa--gfx1030"
	.amdhsa_code_object_version 6
	.protected	bluestein_single_fwd_len578_dim1_sp_op_CI_CI ; -- Begin function bluestein_single_fwd_len578_dim1_sp_op_CI_CI
	.globl	bluestein_single_fwd_len578_dim1_sp_op_CI_CI
	.p2align	8
	.type	bluestein_single_fwd_len578_dim1_sp_op_CI_CI,@function
bluestein_single_fwd_len578_dim1_sp_op_CI_CI: ; @bluestein_single_fwd_len578_dim1_sp_op_CI_CI
; %bb.0:
	s_load_dwordx4 s[8:11], s[4:5], 0x28
	v_mul_u32_u24_e32 v1, 0x788, v0
	v_lshrrev_b32_e32 v1, 16, v1
	v_mad_u64_u32 v[64:65], null, s6, 7, v[1:2]
	v_mov_b32_e32 v65, 0
                                        ; kill: def $vgpr2 killed $sgpr0 killed $exec
	s_mov_b32 s0, exec_lo
	s_waitcnt lgkmcnt(0)
	v_cmpx_gt_u64_e64 s[8:9], v[64:65]
	s_cbranch_execz .LBB0_10
; %bb.1:
	s_clause 0x1
	s_load_dwordx4 s[0:3], s[4:5], 0x18
	s_load_dwordx4 s[12:15], s[4:5], 0x0
	v_mul_lo_u16 v1, v1, 34
	v_sub_nc_u16 v35, v0, v1
	v_and_b32_e32 v121, 0xffff, v35
	v_lshlrev_b32_e32 v34, 3, v121
	s_waitcnt lgkmcnt(0)
	s_load_dwordx4 s[16:19], s[0:1], 0x0
	s_clause 0x3
	global_load_dwordx2 v[75:76], v34, s[12:13]
	global_load_dwordx2 v[77:78], v34, s[12:13] offset:272
	global_load_dwordx2 v[81:82], v34, s[12:13] offset:544
	global_load_dwordx2 v[83:84], v34, s[12:13] offset:816
	v_add_co_u32 v7, s0, s12, v34
	v_add_co_ci_u32_e64 v8, null, s13, 0, s0
	s_clause 0x3
	global_load_dwordx2 v[87:88], v34, s[12:13] offset:1088
	global_load_dwordx2 v[89:90], v34, s[12:13] offset:1360
	;; [unrolled: 1-line block ×4, first 2 shown]
	s_waitcnt lgkmcnt(0)
	v_mad_u64_u32 v[0:1], null, s18, v64, 0
	v_mad_u64_u32 v[2:3], null, s16, v121, 0
	s_mul_i32 s0, s17, 0x110
	s_mul_hi_u32 s1, s16, 0x110
	s_mul_i32 s6, s16, 0x110
	s_add_i32 s1, s1, s0
	v_mad_u64_u32 v[4:5], null, s19, v64, v[1:2]
	v_mad_u64_u32 v[5:6], null, s17, v121, v[3:4]
	v_mov_b32_e32 v1, v4
	v_add_co_u32 v4, vcc_lo, 0x800, v7
	v_lshlrev_b64 v[0:1], 3, v[0:1]
	v_mov_b32_e32 v3, v5
	v_add_co_ci_u32_e32 v5, vcc_lo, 0, v8, vcc_lo
	s_clause 0x3
	global_load_dwordx2 v[97:98], v[4:5], off offset:128
	global_load_dwordx2 v[95:96], v[4:5], off offset:400
	;; [unrolled: 1-line block ×4, first 2 shown]
	v_lshlrev_b64 v[2:3], 3, v[2:3]
	v_add_co_u32 v0, vcc_lo, s10, v0
	v_add_co_ci_u32_e32 v1, vcc_lo, s11, v1, vcc_lo
	s_clause 0x2
	global_load_dwordx2 v[69:70], v[4:5], off offset:1216
	global_load_dwordx2 v[67:68], v[4:5], off offset:1488
	;; [unrolled: 1-line block ×3, first 2 shown]
	v_add_co_u32 v0, vcc_lo, v0, v2
	v_add_co_ci_u32_e32 v1, vcc_lo, v1, v3, vcc_lo
	v_add_co_u32 v2, vcc_lo, v0, s6
	v_add_co_ci_u32_e32 v3, vcc_lo, s1, v1, vcc_lo
	;; [unrolled: 2-line block ×6, first 2 shown]
	s_clause 0x3
	global_load_dwordx2 v[0:1], v[0:1], off
	global_load_dwordx2 v[2:3], v[2:3], off
	;; [unrolled: 1-line block ×4, first 2 shown]
	v_add_co_u32 v14, vcc_lo, v12, s6
	v_add_co_ci_u32_e32 v15, vcc_lo, s1, v13, vcc_lo
	global_load_dwordx2 v[12:13], v[12:13], off
	v_add_co_u32 v16, vcc_lo, v14, s6
	v_add_co_ci_u32_e32 v17, vcc_lo, s1, v15, vcc_lo
	global_load_dwordx2 v[14:15], v[14:15], off
	v_add_co_u32 v18, vcc_lo, v16, s6
	v_add_co_ci_u32_e32 v19, vcc_lo, s1, v17, vcc_lo
	global_load_dwordx2 v[16:17], v[16:17], off
	v_add_co_u32 v20, vcc_lo, v18, s6
	v_add_co_ci_u32_e32 v21, vcc_lo, s1, v19, vcc_lo
	global_load_dwordx2 v[18:19], v[18:19], off
	v_add_co_u32 v22, vcc_lo, v20, s6
	v_add_co_ci_u32_e32 v23, vcc_lo, s1, v21, vcc_lo
	global_load_dwordx2 v[20:21], v[20:21], off
	v_add_co_u32 v24, vcc_lo, v22, s6
	v_add_co_ci_u32_e32 v25, vcc_lo, s1, v23, vcc_lo
	global_load_dwordx2 v[22:23], v[22:23], off
	v_add_co_u32 v26, vcc_lo, v24, s6
	v_add_co_ci_u32_e32 v27, vcc_lo, s1, v25, vcc_lo
	global_load_dwordx2 v[24:25], v[24:25], off
	v_add_co_u32 v28, vcc_lo, v26, s6
	v_add_co_ci_u32_e32 v29, vcc_lo, s1, v27, vcc_lo
	global_load_dwordx2 v[26:27], v[26:27], off
	v_add_co_u32 v30, vcc_lo, v28, s6
	v_add_co_ci_u32_e32 v31, vcc_lo, s1, v29, vcc_lo
	global_load_dwordx2 v[28:29], v[28:29], off
	v_add_co_u32 v32, vcc_lo, v30, s6
	v_add_co_ci_u32_e32 v33, vcc_lo, s1, v31, vcc_lo
	global_load_dwordx2 v[30:31], v[30:31], off
	v_add_co_u32 v36, vcc_lo, v32, s6
	v_add_co_ci_u32_e32 v37, vcc_lo, s1, v33, vcc_lo
	global_load_dwordx2 v[32:33], v[32:33], off
	v_add_co_u32 v38, vcc_lo, v36, s6
	v_add_co_ci_u32_e32 v39, vcc_lo, s1, v37, vcc_lo
	global_load_dwordx2 v[71:72], v[4:5], off offset:2032
	global_load_dwordx2 v[4:5], v[36:37], off
	global_load_dwordx2 v[73:74], v[6:7], off offset:256
	global_load_dwordx2 v[6:7], v[38:39], off
	v_mul_hi_u32 v36, 0x24924925, v64
	s_load_dwordx4 s[8:11], s[2:3], 0x0
	v_cmp_gt_u16_e32 vcc_lo, 17, v35
	s_load_dwordx2 s[2:3], s[4:5], 0x38
	v_sub_nc_u32_e32 v37, v64, v36
	v_lshrrev_b32_e32 v37, 1, v37
	v_add_nc_u32_e32 v36, v37, v36
	v_lshrrev_b32_e32 v36, 2, v36
	v_mul_lo_u32 v36, v36, 7
	v_sub_nc_u32_e32 v36, v64, v36
	v_mul_u32_u24_e32 v36, 0x242, v36
	v_lshlrev_b32_e32 v125, 3, v36
	v_add_nc_u32_e32 v122, v34, v125
	v_add_nc_u32_e32 v40, 0x800, v122
	s_waitcnt vmcnt(18)
	v_mul_f32_e32 v36, v1, v76
	v_mul_f32_e32 v34, v0, v76
	s_waitcnt vmcnt(17)
	v_mul_f32_e32 v38, v3, v78
	s_waitcnt vmcnt(15)
	v_mul_f32_e32 v41, v10, v84
	v_fmac_f32_e32 v36, v0, v75
	v_fma_f32 v37, v1, v75, -v34
	v_mul_f32_e32 v1, v2, v78
	v_fmac_f32_e32 v38, v2, v77
	v_mul_f32_e32 v0, v9, v82
	v_mul_f32_e32 v34, v8, v82
	;; [unrolled: 1-line block ×3, first 2 shown]
	v_fma_f32 v39, v3, v77, -v1
	v_fma_f32 v3, v11, v83, -v41
	v_fmac_f32_e32 v0, v8, v81
	v_fma_f32 v1, v9, v81, -v34
	v_fmac_f32_e32 v2, v10, v83
	s_waitcnt vmcnt(14)
	v_mul_f32_e32 v8, v13, v88
	v_mul_f32_e32 v9, v12, v88
	ds_write2_b64 v122, v[36:37], v[38:39] offset1:34
	s_waitcnt vmcnt(13)
	v_mul_f32_e32 v10, v15, v90
	ds_write2_b64 v122, v[0:1], v[2:3] offset0:68 offset1:102
	v_fmac_f32_e32 v8, v12, v87
	v_mul_f32_e32 v1, v14, v90
	s_waitcnt vmcnt(12)
	v_mul_f32_e32 v0, v17, v92
	v_mul_f32_e32 v3, v16, v92
	s_waitcnt vmcnt(11)
	v_mul_f32_e32 v2, v19, v86
	v_mul_f32_e32 v12, v18, v86
	v_fma_f32 v9, v13, v87, -v9
	v_fmac_f32_e32 v10, v14, v89
	v_fma_f32 v11, v15, v89, -v1
	v_fmac_f32_e32 v0, v16, v91
	;; [unrolled: 2-line block ×3, first 2 shown]
	v_fma_f32 v3, v19, v85, -v12
	ds_write2_b64 v122, v[8:9], v[10:11] offset0:136 offset1:170
	s_waitcnt vmcnt(10)
	v_mul_f32_e32 v12, v21, v98
	v_mul_f32_e32 v13, v20, v98
	s_waitcnt vmcnt(9)
	v_mul_f32_e32 v8, v23, v96
	ds_write2_b64 v122, v[0:1], v[2:3] offset0:204 offset1:238
	v_mul_f32_e32 v1, v22, v96
	s_waitcnt vmcnt(8)
	v_mul_f32_e32 v3, v24, v94
	v_mul_f32_e32 v0, v25, v94
	s_waitcnt vmcnt(7)
	v_mul_f32_e32 v11, v26, v80
	v_mul_f32_e32 v2, v27, v80
	v_fma_f32 v9, v23, v95, -v1
	v_fma_f32 v1, v25, v93, -v3
	v_fmac_f32_e32 v12, v20, v97
	s_waitcnt vmcnt(6)
	v_mul_f32_e32 v10, v29, v70
	v_fma_f32 v3, v27, v79, -v11
	v_mul_f32_e32 v11, v28, v70
	v_fma_f32 v13, v21, v97, -v13
	v_fmac_f32_e32 v8, v22, v95
	s_waitcnt vmcnt(5)
	v_mul_f32_e32 v14, v31, v68
	v_mul_f32_e32 v15, v30, v68
	v_fmac_f32_e32 v0, v24, v93
	v_fmac_f32_e32 v2, v26, v79
	;; [unrolled: 1-line block ×3, first 2 shown]
	s_waitcnt vmcnt(4)
	v_mul_f32_e32 v16, v33, v66
	v_mul_f32_e32 v17, v32, v66
	v_fma_f32 v11, v29, v69, -v11
	s_waitcnt vmcnt(2)
	v_mul_f32_e32 v18, v5, v72
	v_mul_f32_e32 v19, v4, v72
	s_waitcnt vmcnt(0)
	v_mul_f32_e32 v20, v7, v74
	v_mul_f32_e32 v21, v6, v74
	v_fmac_f32_e32 v14, v30, v67
	v_fma_f32 v15, v31, v67, -v15
	v_fmac_f32_e32 v16, v32, v65
	v_fma_f32 v17, v33, v65, -v17
	;; [unrolled: 2-line block ×4, first 2 shown]
	ds_write2_b64 v40, v[12:13], v[8:9] offset0:16 offset1:50
	ds_write2_b64 v40, v[0:1], v[2:3] offset0:84 offset1:118
	;; [unrolled: 1-line block ×4, first 2 shown]
	ds_write_b64 v122, v[20:21] offset:4352
	s_waitcnt lgkmcnt(0)
	s_barrier
	buffer_gl0_inv
	ds_read2_b64 v[8:11], v122 offset1:34
	ds_read_b64 v[28:29], v122 offset:4352
	ds_read2_b64 v[20:23], v122 offset0:68 offset1:102
	ds_read2_b64 v[0:3], v40 offset0:220 offset1:254
	;; [unrolled: 1-line block ×7, first 2 shown]
	s_waitcnt lgkmcnt(0)
	s_barrier
	buffer_gl0_inv
	v_add_f32_e32 v34, v8, v10
	v_add_f32_e32 v36, v9, v11
	v_add_f32_e32 v37, v28, v10
	v_sub_f32_e32 v10, v10, v28
	v_add_f32_e32 v38, v29, v11
	v_add_f32_e32 v39, v2, v20
	;; [unrolled: 1-line block ×3, first 2 shown]
	v_sub_f32_e32 v42, v20, v2
	v_sub_f32_e32 v43, v21, v3
	v_add_f32_e32 v20, v34, v20
	v_add_f32_e32 v21, v36, v21
	v_mul_f32_e32 v36, 0xbeb8f4ab, v10
	v_mul_f32_e32 v53, 0xbf2c7751, v10
	;; [unrolled: 1-line block ×8, first 2 shown]
	v_add_f32_e32 v45, v1, v23
	v_sub_f32_e32 v47, v23, v1
	v_add_f32_e32 v20, v20, v22
	v_add_f32_e32 v21, v21, v23
	v_fmamk_f32 v23, v38, 0x3f6eb680, v36
	v_fma_f32 v36, 0x3f6eb680, v38, -v36
	v_fmamk_f32 v144, v38, 0x3f3d2fb0, v53
	v_fma_f32 v53, 0x3f3d2fb0, v38, -v53
	;; [unrolled: 2-line block ×8, first 2 shown]
	v_sub_f32_e32 v11, v11, v29
	v_add_f32_e32 v23, v9, v23
	v_add_f32_e32 v36, v9, v36
	;; [unrolled: 1-line block ×17, first 2 shown]
	v_mul_f32_e32 v34, 0xbeb8f4ab, v11
	v_mul_f32_e32 v52, 0xbf2c7751, v11
	;; [unrolled: 1-line block ×8, first 2 shown]
	v_add_f32_e32 v10, v10, v26
	v_add_f32_e32 v44, v0, v22
	v_sub_f32_e32 v46, v22, v0
	v_fma_f32 v22, 0x3f6eb680, v37, -v34
	v_fmac_f32_e32 v34, 0x3f6eb680, v37
	v_fma_f32 v143, 0x3f3d2fb0, v37, -v52
	v_fmac_f32_e32 v52, 0x3f3d2fb0, v37
	;; [unrolled: 2-line block ×8, first 2 shown]
	v_add_f32_e32 v10, v10, v12
	v_add_f32_e32 v22, v8, v22
	;; [unrolled: 1-line block ×19, first 2 shown]
	v_mul_f32_e32 v99, 0xbf2c7751, v43
	v_mul_f32_e32 v101, 0xbf7ee86f, v43
	v_mul_f32_e32 v103, 0xbf4c4adb, v43
	v_add_f32_e32 v11, v11, v27
	v_add_f32_e32 v10, v10, v4
	v_mul_f32_e32 v105, 0xbe3c28d5, v43
	v_mul_f32_e32 v107, 0x3f06c442, v43
	v_sub_f32_e32 v49, v25, v33
	v_add_f32_e32 v11, v11, v13
	v_add_f32_e32 v10, v10, v6
	v_mul_f32_e32 v100, 0xbf2c7751, v42
	v_mul_f32_e32 v102, 0xbf7ee86f, v42
	v_mul_f32_e32 v104, 0xbf4c4adb, v42
	v_add_f32_e32 v11, v11, v15
	v_add_f32_e32 v10, v10, v16
	v_mul_f32_e32 v106, 0xbe3c28d5, v42
	v_mul_f32_e32 v108, 0x3f06c442, v42
	v_mul_f32_e32 v109, 0x3f763a35, v43
	;; [unrolled: 5-line block ×3, first 2 shown]
	v_mul_f32_e32 v43, 0x3eb8f4ab, v43
	v_mul_f32_e32 v42, 0x3eb8f4ab, v42
	;; [unrolled: 1-line block ×5, first 2 shown]
	v_fma_f32 v37, 0x3f3d2fb0, v39, -v99
	v_fmac_f32_e32 v99, 0x3f3d2fb0, v39
	v_fma_f32 v157, 0x3dbcf732, v39, -v101
	v_fmac_f32_e32 v101, 0x3dbcf732, v39
	;; [unrolled: 2-line block ×5, first 2 shown]
	v_add_f32_e32 v11, v11, v7
	v_add_f32_e32 v10, v10, v30
	;; [unrolled: 1-line block ×3, first 2 shown]
	v_sub_f32_e32 v50, v24, v32
	v_mul_f32_e32 v113, 0xbf65296c, v47
	v_mul_f32_e32 v118, 0xbeb8f4ab, v47
	;; [unrolled: 1-line block ×7, first 2 shown]
	v_fmamk_f32 v38, v41, 0x3f3d2fb0, v100
	v_fma_f32 v100, 0x3f3d2fb0, v41, -v100
	v_fmamk_f32 v158, v41, 0x3dbcf732, v102
	v_fma_f32 v102, 0x3dbcf732, v41, -v102
	;; [unrolled: 2-line block ×5, first 2 shown]
	v_fma_f32 v165, 0xbe8c1d8e, v39, -v109
	v_fmamk_f32 v166, v41, 0xbe8c1d8e, v110
	v_fmac_f32_e32 v109, 0xbe8c1d8e, v39
	v_fma_f32 v110, 0xbe8c1d8e, v41, -v110
	v_fma_f32 v167, 0x3ee437d1, v39, -v111
	v_fmamk_f32 v168, v41, 0x3ee437d1, v112
	v_fmac_f32_e32 v111, 0x3ee437d1, v39
	v_fma_f32 v112, 0x3ee437d1, v41, -v112
	v_fma_f32 v169, 0x3f6eb680, v39, -v43
	v_fmac_f32_e32 v43, 0x3f6eb680, v39
	v_fmamk_f32 v39, v41, 0x3f6eb680, v42
	v_fma_f32 v41, 0x3f6eb680, v41, -v42
	v_fma_f32 v171, 0xbf7ba420, v44, -v115
	v_fmac_f32_e32 v115, 0xbf7ba420, v44
	v_fma_f32 v172, 0xbe8c1d8e, v44, -v116
	v_fmac_f32_e32 v116, 0xbe8c1d8e, v44
	;; [unrolled: 2-line block ×3, first 2 shown]
	v_add_f32_e32 v20, v37, v22
	v_add_f32_e32 v22, v99, v34
	;; [unrolled: 1-line block ×9, first 2 shown]
	v_mul_f32_e32 v114, 0xbf4c4adb, v47
	v_mul_f32_e32 v119, 0xbf7ee86f, v47
	;; [unrolled: 1-line block ×10, first 2 shown]
	v_fma_f32 v42, 0x3ee437d1, v44, -v113
	v_fma_f32 v174, 0x3f6eb680, v44, -v118
	v_fmamk_f32 v178, v45, 0xbf7ba420, v124
	v_fma_f32 v124, 0xbf7ba420, v45, -v124
	v_fmamk_f32 v179, v45, 0xbe8c1d8e, v126
	;; [unrolled: 2-line block ×4, first 2 shown]
	v_fma_f32 v191, 0x3ee437d1, v48, -v138
	v_fmac_f32_e32 v138, 0x3ee437d1, v48
	v_add_f32_e32 v21, v38, v23
	v_add_f32_e32 v23, v100, v36
	v_add_f32_e32 v36, v102, v53
	v_add_f32_e32 v53, v104, v55
	v_add_f32_e32 v57, v106, v57
	v_add_f32_e32 v59, v108, v59
	v_add_f32_e32 v101, v165, v151
	v_add_f32_e32 v102, v166, v152
	v_add_f32_e32 v9, v41, v9
	v_add_f32_e32 v41, v115, v52
	v_add_f32_e32 v52, v116, v56
	v_add_f32_e32 v56, v117, v58
	v_add_f32_e32 v11, v11, v19
	v_add_f32_e32 v0, v10, v0
	v_fmac_f32_e32 v113, 0x3ee437d1, v44
	v_fma_f32 v170, 0xbf1a4643, v44, -v114
	v_fmac_f32_e32 v114, 0xbf1a4643, v44
	v_fmac_f32_e32 v118, 0x3f6eb680, v44
	v_fma_f32 v175, 0x3dbcf732, v44, -v119
	v_fmac_f32_e32 v119, 0x3dbcf732, v44
	v_fma_f32 v176, 0xbf59a7d5, v44, -v47
	v_fmac_f32_e32 v47, 0xbf59a7d5, v44
	v_fmamk_f32 v44, v45, 0x3ee437d1, v120
	v_fma_f32 v120, 0x3ee437d1, v45, -v120
	v_fmamk_f32 v177, v45, 0xbf1a4643, v123
	v_fma_f32 v123, 0xbf1a4643, v45, -v123
	v_fma_f32 v128, 0x3f6eb680, v45, -v128
	v_fmamk_f32 v182, v45, 0x3dbcf732, v129
	v_fma_f32 v129, 0x3dbcf732, v45, -v129
	v_fmamk_f32 v183, v45, 0xbf59a7d5, v46
	v_fma_f32 v45, 0xbf59a7d5, v45, -v46
	v_fma_f32 v46, 0x3dbcf732, v48, -v130
	;; [unrolled: 1-line block ×3, first 2 shown]
	v_fmamk_f32 v194, v51, 0xbf59a7d5, v141
	v_add_f32_e32 v54, v161, v147
	v_add_f32_e32 v99, v163, v149
	;; [unrolled: 1-line block ×11, first 2 shown]
	v_sub_f32_e32 v56, v27, v31
	v_mul_f32_e32 v131, 0xbf7ee86f, v50
	v_mul_f32_e32 v132, 0xbe3c28d5, v49
	;; [unrolled: 1-line block ×9, first 2 shown]
	v_add_f32_e32 v8, v43, v8
	v_add_f32_e32 v43, v172, v54
	;; [unrolled: 1-line block ×8, first 2 shown]
	v_mul_f32_e32 v28, 0x3f4c4adb, v50
	v_add_f32_e32 v46, v194, v59
	v_mul_f32_e32 v49, 0x3f2c7751, v49
	v_mul_f32_e32 v50, 0x3f2c7751, v50
	v_add_f32_e32 v58, v30, v26
	v_mul_f32_e32 v59, 0xbf763a35, v56
	v_sub_f32_e32 v26, v26, v30
	v_fmamk_f32 v184, v51, 0x3dbcf732, v131
	v_fmac_f32_e32 v130, 0x3dbcf732, v48
	v_fma_f32 v131, 0x3dbcf732, v51, -v131
	v_fma_f32 v185, 0xbf7ba420, v48, -v132
	v_fmac_f32_e32 v132, 0xbf7ba420, v48
	v_fma_f32 v187, 0xbe8c1d8e, v48, -v134
	v_fmac_f32_e32 v134, 0xbe8c1d8e, v48
	;; [unrolled: 2-line block ×3, first 2 shown]
	v_add_f32_e32 v24, v157, v143
	v_add_f32_e32 v25, v158, v144
	;; [unrolled: 1-line block ×7, first 2 shown]
	v_fmac_f32_e32 v140, 0xbf59a7d5, v48
	v_fma_f32 v47, 0xbf1a4643, v48, -v142
	v_fmac_f32_e32 v142, 0xbf1a4643, v48
	v_fma_f32 v54, 0x3f3d2fb0, v48, -v49
	;; [unrolled: 2-line block ×3, first 2 shown]
	v_add_f32_e32 v27, v31, v27
	v_fma_f32 v31, 0xbe8c1d8e, v58, -v59
	v_mul_f32_e32 v48, 0xbf763a35, v26
	v_fmamk_f32 v186, v51, 0xbf7ba420, v133
	v_fmamk_f32 v192, v51, 0x3ee437d1, v139
	v_fma_f32 v139, 0x3ee437d1, v51, -v139
	v_add_f32_e32 v37, v159, v145
	v_add_f32_e32 v24, v170, v24
	;; [unrolled: 1-line block ×8, first 2 shown]
	v_fmamk_f32 v30, v27, 0xbe8c1d8e, v48
	v_mul_f32_e32 v31, 0x3f06c442, v56
	v_fma_f32 v48, 0xbe8c1d8e, v27, -v48
	v_mul_f32_e32 v49, 0x3f06c442, v26
	v_fma_f32 v133, 0xbf7ba420, v51, -v133
	v_add_f32_e32 v38, v160, v146
	v_add_f32_e32 v34, v114, v34
	;; [unrolled: 1-line block ×8, first 2 shown]
	v_fmamk_f32 v57, v51, 0x3f3d2fb0, v50
	v_add_f32_e32 v21, v30, v21
	v_fma_f32 v30, 0xbf59a7d5, v58, -v31
	v_add_f32_e32 v23, v48, v23
	v_fmamk_f32 v48, v27, 0xbf59a7d5, v49
	v_mul_f32_e32 v50, 0x3f2c7751, v56
	v_fmamk_f32 v188, v51, 0xbe8c1d8e, v135
	v_fma_f32 v135, 0xbe8c1d8e, v51, -v135
	v_fmamk_f32 v190, v51, 0x3f6eb680, v137
	v_fma_f32 v137, 0x3f6eb680, v51, -v137
	v_add_f32_e32 v55, v162, v148
	v_add_f32_e32 v38, v178, v38
	;; [unrolled: 1-line block ×6, first 2 shown]
	v_fmac_f32_e32 v31, 0xbf59a7d5, v58
	v_fma_f32 v30, 0xbf59a7d5, v27, -v49
	v_add_f32_e32 v25, v48, v25
	v_fma_f32 v48, 0x3f3d2fb0, v58, -v50
	v_mul_f32_e32 v49, 0x3f2c7751, v26
	v_add_f32_e32 v44, v179, v55
	v_add_f32_e32 v38, v188, v38
	;; [unrolled: 1-line block ×6, first 2 shown]
	v_fma_f32 v29, 0xbf59a7d5, v51, -v141
	v_fmamk_f32 v53, v51, 0xbf1a4643, v28
	v_fma_f32 v28, 0xbf1a4643, v51, -v28
	v_add_f32_e32 v31, v31, v34
	v_add_f32_e32 v30, v30, v36
	v_mul_f32_e32 v34, 0xbf65296c, v56
	v_add_f32_e32 v36, v48, v37
	v_fmamk_f32 v37, v27, 0x3f3d2fb0, v49
	v_fmac_f32_e32 v50, 0x3f3d2fb0, v58
	v_fma_f32 v48, 0x3f3d2fb0, v27, -v49
	v_mul_f32_e32 v51, 0xbf65296c, v26
	v_add_f32_e32 v100, v164, v150
	v_add_f32_e32 v32, v189, v43
	v_add_f32_e32 v33, v190, v44
	v_fma_f32 v49, 0x3ee437d1, v58, -v34
	v_add_f32_e32 v37, v37, v38
	v_add_f32_e32 v38, v50, v41
	;; [unrolled: 1-line block ×3, first 2 shown]
	v_fmamk_f32 v42, v27, 0x3ee437d1, v51
	v_mul_f32_e32 v48, 0xbe3c28d5, v56
	v_add_f32_e32 v55, v180, v100
	v_add_f32_e32 v43, v136, v52
	;; [unrolled: 1-line block ×3, first 2 shown]
	v_fmac_f32_e32 v34, 0x3ee437d1, v58
	v_fma_f32 v49, 0x3ee437d1, v27, -v51
	v_mul_f32_e32 v50, 0xbe3c28d5, v26
	v_add_f32_e32 v33, v42, v33
	v_fma_f32 v42, 0xbf7ba420, v58, -v48
	v_add_f32_e32 v60, v109, v60
	v_add_f32_e32 v103, v167, v153
	;; [unrolled: 1-line block ×5, first 2 shown]
	v_fmamk_f32 v43, v27, 0xbf7ba420, v50
	v_mul_f32_e32 v49, 0x3f7ee86f, v56
	v_add_f32_e32 v11, v42, v11
	v_fma_f32 v42, 0xbf7ba420, v27, -v50
	v_add_f32_e32 v63, v112, v63
	v_add_f32_e32 v39, v39, v156
	;; [unrolled: 1-line block ×4, first 2 shown]
	v_fmac_f32_e32 v48, 0xbf7ba420, v58
	v_add_f32_e32 v43, v43, v44
	v_fma_f32 v44, 0x3dbcf732, v58, -v49
	v_mul_f32_e32 v50, 0x3f7ee86f, v26
	v_add_f32_e32 v3, v42, v3
	v_mul_f32_e32 v42, 0xbeb8f4ab, v56
	v_add_f32_e32 v61, v110, v61
	v_add_f32_e32 v63, v129, v63
	;; [unrolled: 1-line block ×7, first 2 shown]
	v_fmamk_f32 v45, v27, 0x3dbcf732, v50
	v_fmac_f32_e32 v49, 0x3dbcf732, v58
	v_fma_f32 v48, 0x3dbcf732, v27, -v50
	v_fma_f32 v50, 0x3f6eb680, v58, -v42
	v_mul_f32_e32 v51, 0xbeb8f4ab, v26
	v_mul_f32_e32 v26, 0xbf4c4adb, v26
	v_add_f32_e32 v61, v128, v61
	v_add_f32_e32 v28, v28, v63
	;; [unrolled: 1-line block ×6, first 2 shown]
	v_fma_f32 v50, 0x3f6eb680, v27, -v51
	v_fmamk_f32 v52, v27, 0xbf1a4643, v26
	v_add_f32_e32 v29, v29, v61
	v_mul_f32_e32 v49, 0xbf4c4adb, v56
	v_add_f32_e32 v22, v113, v22
	v_add_f32_e32 v28, v50, v28
	v_sub_f32_e32 v50, v13, v19
	v_add_f32_e32 v39, v52, v39
	v_add_f32_e32 v52, v18, v12
	v_sub_f32_e32 v12, v12, v18
	v_add_f32_e32 v29, v48, v29
	v_fmamk_f32 v48, v27, 0x3f6eb680, v51
	v_fma_f32 v51, 0xbf1a4643, v58, -v49
	v_mul_f32_e32 v18, 0xbf4c4adb, v50
	v_fmac_f32_e32 v49, 0xbf1a4643, v58
	v_fma_f32 v26, 0xbf1a4643, v27, -v26
	v_add_f32_e32 v13, v19, v13
	v_mul_f32_e32 v19, 0xbf4c4adb, v12
	v_add_f32_e32 v104, v168, v154
	v_add_f32_e32 v22, v130, v22
	v_fmac_f32_e32 v59, 0xbe8c1d8e, v58
	v_fma_f32 v27, 0xbf1a4643, v52, -v18
	v_add_f32_e32 v8, v49, v8
	v_add_f32_e32 v9, v26, v9
	v_mul_f32_e32 v26, 0x3f763a35, v50
	v_fmamk_f32 v49, v13, 0xbf1a4643, v19
	v_add_f32_e32 v100, v182, v104
	v_add_f32_e32 v22, v59, v22
	;; [unrolled: 1-line block ×3, first 2 shown]
	v_fmac_f32_e32 v18, 0xbf1a4643, v52
	v_fma_f32 v19, 0xbf1a4643, v13, -v19
	v_fma_f32 v27, 0xbe8c1d8e, v52, -v26
	v_add_f32_e32 v21, v49, v21
	v_mul_f32_e32 v49, 0x3f763a35, v12
	v_add_f32_e32 v53, v53, v100
	v_add_f32_e32 v18, v18, v22
	;; [unrolled: 1-line block ×4, first 2 shown]
	v_mul_f32_e32 v23, 0xbeb8f4ab, v50
	v_fmamk_f32 v24, v13, 0xbe8c1d8e, v49
	v_fmac_f32_e32 v26, 0xbe8c1d8e, v52
	v_fma_f32 v27, 0xbe8c1d8e, v13, -v49
	v_mul_f32_e32 v49, 0xbeb8f4ab, v12
	v_add_f32_e32 v48, v48, v53
	v_fma_f32 v53, 0x3f6eb680, v52, -v23
	v_add_f32_e32 v24, v24, v25
	v_add_f32_e32 v25, v26, v31
	v_add_f32_e32 v26, v27, v30
	v_fmamk_f32 v27, v13, 0x3f6eb680, v49
	v_add_f32_e32 v30, v53, v36
	v_mul_f32_e32 v31, 0xbf06c442, v50
	v_fmac_f32_e32 v23, 0x3f6eb680, v52
	v_fma_f32 v36, 0x3f6eb680, v13, -v49
	v_add_f32_e32 v27, v27, v37
	v_mul_f32_e32 v37, 0xbf06c442, v12
	v_fma_f32 v49, 0xbf59a7d5, v52, -v31
	v_add_f32_e32 v23, v23, v38
	v_add_f32_e32 v36, v36, v41
	v_mul_f32_e32 v38, 0x3f7ee86f, v50
	v_fmamk_f32 v41, v13, 0xbf59a7d5, v37
	v_fmac_f32_e32 v31, 0xbf59a7d5, v52
	v_add_f32_e32 v32, v49, v32
	v_fma_f32 v37, 0xbf59a7d5, v13, -v37
	v_fma_f32 v49, 0x3dbcf732, v52, -v38
	v_add_f32_e32 v33, v41, v33
	v_mul_f32_e32 v41, 0x3f7ee86f, v12
	v_add_f32_e32 v31, v31, v34
	v_mul_f32_e32 v34, 0xbf2c7751, v50
	v_add_f32_e32 v62, v111, v62
	v_add_f32_e32 v105, v169, v155
	;; [unrolled: 1-line block ×4, first 2 shown]
	v_fmamk_f32 v37, v13, 0x3dbcf732, v41
	v_fmac_f32_e32 v38, 0x3dbcf732, v52
	v_fma_f32 v41, 0x3dbcf732, v13, -v41
	v_mul_f32_e32 v49, 0xbf2c7751, v12
	v_fma_f32 v53, 0x3f3d2fb0, v52, -v34
	v_add_f32_e32 v62, v119, v62
	v_add_f32_e32 v101, v176, v105
	;; [unrolled: 1-line block ×5, first 2 shown]
	v_fmamk_f32 v38, v13, 0x3f3d2fb0, v49
	v_add_f32_e32 v41, v53, v44
	v_mul_f32_e32 v43, 0xbe3c28d5, v50
	v_fma_f32 v44, 0x3f3d2fb0, v13, -v49
	v_add_f32_e32 v55, v142, v62
	v_add_f32_e32 v54, v54, v101
	v_fmac_f32_e32 v42, 0x3f6eb680, v58
	v_fmac_f32_e32 v34, 0x3f3d2fb0, v52
	v_add_f32_e32 v38, v38, v45
	v_mul_f32_e32 v45, 0xbe3c28d5, v12
	v_fma_f32 v49, 0xbf7ba420, v52, -v43
	v_add_f32_e32 v29, v44, v29
	v_mul_f32_e32 v44, 0x3f65296c, v50
	v_add_f32_e32 v42, v42, v55
	v_add_f32_e32 v51, v51, v54
	;; [unrolled: 1-line block ×3, first 2 shown]
	v_fmamk_f32 v46, v13, 0xbf7ba420, v45
	v_add_f32_e32 v47, v49, v47
	v_fmac_f32_e32 v43, 0xbf7ba420, v52
	v_fma_f32 v45, 0xbf7ba420, v13, -v45
	v_fma_f32 v49, 0x3ee437d1, v52, -v44
	v_mul_f32_e32 v12, 0x3f65296c, v12
	v_add_f32_e32 v46, v46, v48
	v_add_f32_e32 v42, v43, v42
	;; [unrolled: 1-line block ×4, first 2 shown]
	v_sub_f32_e32 v45, v15, v17
	v_sub_f32_e32 v49, v14, v16
	v_fmamk_f32 v48, v13, 0x3ee437d1, v12
	v_fmac_f32_e32 v44, 0x3ee437d1, v52
	v_add_f32_e32 v14, v16, v14
	v_mul_f32_e32 v16, 0xbf06c442, v45
	v_fma_f32 v12, 0x3ee437d1, v13, -v12
	v_add_f32_e32 v13, v17, v15
	v_mul_f32_e32 v15, 0xbf06c442, v49
	v_add_f32_e32 v17, v48, v39
	v_fma_f32 v39, 0xbf59a7d5, v14, -v16
	v_add_f32_e32 v8, v44, v8
	v_add_f32_e32 v9, v12, v9
	v_fmamk_f32 v12, v13, 0xbf59a7d5, v15
	v_mul_f32_e32 v44, 0x3f65296c, v45
	v_fmac_f32_e32 v16, 0xbf59a7d5, v14
	v_add_f32_e32 v20, v39, v20
	v_fma_f32 v15, 0xbf59a7d5, v13, -v15
	v_add_f32_e32 v12, v12, v21
	v_fma_f32 v21, 0x3ee437d1, v14, -v44
	v_mul_f32_e32 v39, 0x3f65296c, v49
	v_add_f32_e32 v16, v16, v18
	v_mul_f32_e32 v18, 0xbf7ee86f, v45
	v_add_f32_e32 v15, v15, v19
	v_add_f32_e32 v19, v21, v22
	v_fmamk_f32 v21, v13, 0x3ee437d1, v39
	v_fmac_f32_e32 v44, 0x3ee437d1, v14
	v_fma_f32 v22, 0x3ee437d1, v13, -v39
	v_fma_f32 v39, 0x3dbcf732, v14, -v18
	v_mul_f32_e32 v48, 0xbf7ee86f, v49
	v_add_f32_e32 v21, v21, v24
	v_add_f32_e32 v24, v44, v25
	v_add_f32_e32 v22, v22, v26
	v_add_f32_e32 v25, v39, v30
	v_fmamk_f32 v26, v13, 0x3dbcf732, v48
	v_mul_f32_e32 v30, 0x3f4c4adb, v45
	v_fmac_f32_e32 v18, 0x3dbcf732, v14
	v_fma_f32 v39, 0x3dbcf732, v13, -v48
	v_mul_f32_e32 v44, 0x3f4c4adb, v49
	v_add_f32_e32 v26, v26, v27
	v_fma_f32 v27, 0xbf1a4643, v14, -v30
	v_add_f32_e32 v18, v18, v23
	v_add_f32_e32 v23, v39, v36
	v_fmamk_f32 v36, v13, 0xbf1a4643, v44
	v_mul_f32_e32 v39, 0xbeb8f4ab, v45
	v_add_f32_e32 v27, v27, v32
	v_fmac_f32_e32 v30, 0xbf1a4643, v14
	v_fma_f32 v32, 0xbf1a4643, v13, -v44
	v_add_f32_e32 v33, v36, v33
	v_fma_f32 v36, 0x3f6eb680, v14, -v39
	v_mul_f32_e32 v44, 0xbeb8f4ab, v49
	v_add_f32_e32 v30, v30, v31
	v_add_f32_e32 v31, v32, v10
	v_mul_f32_e32 v10, 0xbe3c28d5, v45
	v_add_f32_e32 v32, v36, v11
	v_fmac_f32_e32 v39, 0x3f6eb680, v14
	v_fma_f32 v36, 0x3f6eb680, v13, -v44
	v_mul_f32_e32 v48, 0xbe3c28d5, v49
	v_fmamk_f32 v11, v13, 0x3f6eb680, v44
	v_fma_f32 v44, 0xbf7ba420, v14, -v10
	v_add_f32_e32 v39, v39, v2
	v_add_f32_e32 v36, v36, v3
	v_fmamk_f32 v2, v13, 0xbf7ba420, v48
	v_mul_f32_e32 v3, 0x3f2c7751, v45
	v_add_f32_e32 v37, v11, v37
	v_add_f32_e32 v41, v44, v41
	v_mul_f32_e32 v11, 0x3f2c7751, v49
	v_fma_f32 v44, 0xbf7ba420, v13, -v48
	v_add_f32_e32 v38, v2, v38
	v_fma_f32 v2, 0x3f3d2fb0, v14, -v3
	v_fmac_f32_e32 v10, 0xbf7ba420, v14
	v_fmac_f32_e32 v3, 0x3f3d2fb0, v14
	v_add_f32_e32 v29, v44, v29
	v_mul_f32_e32 v44, 0xbf763a35, v45
	v_add_f32_e32 v45, v2, v47
	v_fma_f32 v2, 0x3f3d2fb0, v13, -v11
	v_add_f32_e32 v34, v10, v34
	v_fmamk_f32 v10, v13, 0x3f3d2fb0, v11
	v_mul_f32_e32 v11, 0xbf763a35, v49
	v_add_f32_e32 v42, v3, v42
	v_add_f32_e32 v48, v2, v28
	v_sub_f32_e32 v28, v4, v6
	v_add_f32_e32 v46, v10, v46
	v_fma_f32 v10, 0xbe8c1d8e, v14, -v44
	v_sub_f32_e32 v47, v5, v7
	v_fma_f32 v3, 0xbe8c1d8e, v13, -v11
	v_add_f32_e32 v50, v7, v5
	v_mul_f32_e32 v5, 0xbe3c28d5, v28
	v_add_f32_e32 v43, v10, v43
	v_add_f32_e32 v49, v6, v4
	v_mul_f32_e32 v10, 0xbe3c28d5, v47
	v_add_f32_e32 v52, v3, v9
	v_fmamk_f32 v3, v50, 0xbf7ba420, v5
	v_fmamk_f32 v2, v13, 0xbe8c1d8e, v11
	v_mul_f32_e32 v7, 0x3eb8f4ab, v28
	v_fma_f32 v4, 0xbf7ba420, v49, -v10
	v_fmac_f32_e32 v10, 0xbf7ba420, v49
	v_add_f32_e32 v3, v3, v12
	v_mul_f32_e32 v12, 0xbf06c442, v47
	v_fmac_f32_e32 v44, 0xbe8c1d8e, v14
	v_add_f32_e32 v51, v2, v17
	v_add_f32_e32 v2, v4, v20
	v_fma_f32 v5, 0xbf7ba420, v50, -v5
	v_add_f32_e32 v4, v10, v16
	v_fmamk_f32 v9, v50, 0x3f6eb680, v7
	v_fma_f32 v10, 0x3f6eb680, v50, -v7
	v_fma_f32 v11, 0xbf59a7d5, v49, -v12
	v_mul_f32_e32 v13, 0xbf06c442, v28
	v_mul_f32_e32 v16, 0x3f2c7751, v47
	v_add_f32_e32 v44, v44, v8
	v_mul_f32_e32 v8, 0x3eb8f4ab, v47
	v_add_f32_e32 v5, v5, v15
	v_add_f32_e32 v7, v9, v21
	v_add_f32_e32 v9, v10, v22
	v_add_f32_e32 v10, v11, v25
	v_fmamk_f32 v11, v50, 0xbf59a7d5, v13
	v_fmac_f32_e32 v12, 0xbf59a7d5, v49
	v_fma_f32 v13, 0xbf59a7d5, v50, -v13
	v_fma_f32 v14, 0x3f3d2fb0, v49, -v16
	v_mul_f32_e32 v15, 0x3f2c7751, v28
	v_mul_f32_e32 v20, 0xbf4c4adb, v47
	v_fmac_f32_e32 v16, 0x3f3d2fb0, v49
	v_fma_f32 v6, 0x3f6eb680, v49, -v8
	v_add_f32_e32 v12, v12, v18
	v_add_f32_e32 v13, v13, v23
	v_fmamk_f32 v17, v50, 0x3f3d2fb0, v15
	v_fma_f32 v18, 0x3f3d2fb0, v50, -v15
	v_fma_f32 v21, 0xbf1a4643, v49, -v20
	v_add_f32_e32 v16, v16, v30
	v_mul_f32_e32 v23, 0x3f65296c, v28
	v_mul_f32_e32 v30, 0xbf763a35, v47
	v_add_f32_e32 v6, v6, v19
	v_fmac_f32_e32 v8, 0x3f6eb680, v49
	v_add_f32_e32 v11, v11, v26
	v_add_f32_e32 v14, v14, v27
	v_mul_f32_e32 v19, 0xbf4c4adb, v28
	v_add_f32_e32 v15, v17, v33
	v_add_f32_e32 v17, v18, v31
	;; [unrolled: 1-line block ×3, first 2 shown]
	v_fmamk_f32 v25, v50, 0x3ee437d1, v23
	v_fma_f32 v26, 0x3ee437d1, v50, -v23
	v_fma_f32 v27, 0xbe8c1d8e, v49, -v30
	v_mul_f32_e32 v31, 0xbf763a35, v28
	v_fmac_f32_e32 v30, 0xbe8c1d8e, v49
	v_mul_f32_e32 v32, 0x3f7ee86f, v47
	v_add_f32_e32 v8, v8, v24
	v_fmamk_f32 v22, v50, 0xbf1a4643, v19
	v_mul_f32_e32 v24, 0x3f65296c, v47
	v_fma_f32 v21, 0xbf1a4643, v50, -v19
	v_add_f32_e32 v23, v25, v38
	v_add_f32_e32 v25, v26, v29
	;; [unrolled: 1-line block ×3, first 2 shown]
	v_fmamk_f32 v27, v50, 0xbe8c1d8e, v31
	v_fma_f32 v29, 0xbe8c1d8e, v50, -v31
	v_mul_f32_e32 v31, 0x3f7ee86f, v28
	v_add_f32_e32 v28, v30, v42
	v_fma_f32 v30, 0x3dbcf732, v49, -v32
	v_fmac_f32_e32 v32, 0x3dbcf732, v49
	v_mul_lo_u16 v38, v35, 17
	v_add_co_u32 v99, s0, 0xffffffef, v121
	v_add_f32_e32 v19, v22, v37
	v_fma_f32 v22, 0x3ee437d1, v49, -v24
	v_add_f32_e32 v21, v21, v36
	v_fmac_f32_e32 v24, 0x3ee437d1, v49
	v_fmamk_f32 v33, v50, 0x3dbcf732, v31
	v_add_f32_e32 v36, v32, v44
	v_and_b32_e32 v32, 0xffff, v38
	v_add_co_ci_u32_e64 v100, null, 0, -1, s0
	v_add_f32_e32 v24, v24, v34
	v_fma_f32 v34, 0x3dbcf732, v50, -v31
	v_add_f32_e32 v31, v33, v51
	v_lshl_add_u32 v123, v32, 3, v125
	v_cndmask_b32_e64 v33, v100, 0, vcc_lo
	v_cndmask_b32_e32 v32, v99, v121, vcc_lo
	v_fmac_f32_e32 v20, 0xbf1a4643, v49
	v_add_f32_e32 v22, v22, v41
	v_add_f32_e32 v27, v27, v46
	ds_write2_b64 v123, v[0:1], v[2:3] offset1:1
	ds_write2_b64 v123, v[6:7], v[10:11] offset0:2 offset1:3
	ds_write2_b64 v123, v[14:15], v[18:19] offset0:4 offset1:5
	;; [unrolled: 1-line block ×3, first 2 shown]
	v_lshlrev_b64 v[0:1], 7, v[32:33]
	v_add_f32_e32 v30, v30, v43
	v_add_f32_e32 v37, v34, v52
	;; [unrolled: 1-line block ×4, first 2 shown]
	ds_write2_b64 v123, v[30:31], v[36:37] offset0:8 offset1:9
	ds_write2_b64 v123, v[28:29], v[24:25] offset0:10 offset1:11
	ds_write2_b64 v123, v[20:21], v[16:17] offset0:12 offset1:13
	ds_write2_b64 v123, v[12:13], v[8:9] offset0:14 offset1:15
	v_add_co_u32 v8, s0, s14, v0
	v_add_co_ci_u32_e64 v9, s0, s15, v1, s0
	ds_write_b64 v123, v[4:5] offset:128
	s_waitcnt lgkmcnt(0)
	s_barrier
	buffer_gl0_inv
	s_clause 0x7
	global_load_dwordx4 v[28:31], v[8:9], off
	global_load_dwordx4 v[24:27], v[8:9], off offset:16
	global_load_dwordx4 v[20:23], v[8:9], off offset:32
	;; [unrolled: 1-line block ×7, first 2 shown]
	ds_read2_b64 v[59:62], v122 offset1:34
	ds_read2_b64 v[36:39], v122 offset0:68 offset1:102
	ds_read2_b64 v[41:44], v122 offset0:136 offset1:170
	;; [unrolled: 1-line block ×7, first 2 shown]
	ds_read_b64 v[33:34], v122 offset:4352
	v_cmp_lt_u16_e64 s0, 16, v35
	s_waitcnt vmcnt(0) lgkmcnt(0)
	s_barrier
	buffer_gl0_inv
	v_cndmask_b32_e64 v35, 0, 0x121, s0
	v_add_nc_u32_e32 v32, v32, v35
	v_mul_f32_e32 v124, v36, v31
	v_mul_f32_e32 v63, v61, v29
	;; [unrolled: 1-line block ×5, first 2 shown]
	v_fmac_f32_e32 v124, v37, v30
	v_mul_f32_e32 v37, v42, v27
	v_fmac_f32_e32 v63, v62, v28
	v_fma_f32 v62, v36, v30, -v46
	v_mul_f32_e32 v36, v39, v25
	v_fma_f32 v61, v61, v28, -v45
	v_fma_f32 v54, v41, v26, -v37
	v_mul_f32_e32 v37, v104, v5
	v_mul_f32_e32 v45, v44, v21
	v_fma_f32 v58, v38, v24, -v36
	v_fmac_f32_e32 v53, v42, v26
	v_mul_f32_e32 v36, v102, v23
	v_mul_f32_e32 v41, v103, v5
	v_fma_f32 v42, v103, v4, -v37
	v_mul_f32_e32 v103, v34, v3
	v_mul_f32_e32 v57, v38, v25
	v_fma_f32 v50, v43, v20, -v45
	v_mul_f32_e32 v45, v101, v23
	v_fma_f32 v46, v101, v22, -v36
	v_fmac_f32_e32 v41, v104, v4
	v_mul_f32_e32 v38, v106, v7
	v_mul_f32_e32 v36, v105, v7
	;; [unrolled: 1-line block ×3, first 2 shown]
	v_fma_f32 v33, v33, v2, -v103
	v_mul_f32_e32 v104, v120, v1
	v_fma_f32 v38, v105, v6, -v38
	v_fmac_f32_e32 v36, v106, v6
	v_fmac_f32_e32 v101, v34, v2
	v_mul_f32_e32 v105, v119, v1
	v_add_f32_e32 v106, v61, v33
	v_fma_f32 v104, v119, v0, -v104
	v_sub_f32_e32 v119, v61, v33
	v_add_f32_e32 v61, v59, v61
	v_sub_f32_e32 v34, v63, v101
	v_add_f32_e32 v127, v63, v101
	v_add_f32_e32 v63, v60, v63
	v_fmac_f32_e32 v57, v39, v24
	v_add_f32_e32 v61, v61, v62
	v_mul_f32_e32 v49, v43, v21
	v_fmac_f32_e32 v45, v102, v22
	v_add_f32_e32 v63, v63, v124
	v_mul_f32_e32 v39, v108, v17
	v_add_f32_e32 v61, v61, v58
	v_fmac_f32_e32 v49, v44, v20
	v_mul_f32_e32 v37, v107, v17
	v_add_f32_e32 v63, v63, v57
	v_mul_f32_e32 v43, v110, v19
	v_add_f32_e32 v61, v61, v54
	v_fma_f32 v39, v107, v16, -v39
	v_fmac_f32_e32 v37, v108, v16
	v_add_f32_e32 v63, v63, v53
	v_fma_f32 v44, v109, v18, -v43
	v_add_f32_e32 v61, v61, v50
	v_mul_f32_e32 v43, v109, v19
	v_mul_f32_e32 v48, v112, v13
	v_add_f32_e32 v63, v63, v49
	v_mul_f32_e32 v47, v111, v13
	v_add_f32_e32 v61, v61, v46
	v_mul_f32_e32 v52, v114, v15
	v_fmac_f32_e32 v43, v110, v18
	v_add_f32_e32 v63, v63, v45
	v_fma_f32 v48, v111, v12, -v48
	v_add_f32_e32 v61, v61, v42
	v_mul_f32_e32 v51, v113, v15
	v_fmac_f32_e32 v47, v112, v12
	v_add_f32_e32 v63, v63, v41
	v_fma_f32 v52, v113, v14, -v52
	v_add_f32_e32 v61, v61, v38
	v_mul_f32_e32 v56, v116, v9
	v_mul_f32_e32 v102, v118, v11
	v_add_f32_e32 v63, v63, v36
	v_mul_f32_e32 v103, v117, v11
	v_add_f32_e32 v61, v61, v39
	v_fmac_f32_e32 v51, v114, v14
	v_mul_f32_e32 v55, v115, v9
	v_add_f32_e32 v63, v63, v37
	v_fma_f32 v56, v115, v8, -v56
	v_add_f32_e32 v61, v61, v44
	v_fma_f32 v102, v117, v10, -v102
	v_mul_f32_e32 v107, 0xbeb8f4ab, v34
	v_add_f32_e32 v63, v63, v43
	v_fmac_f32_e32 v103, v118, v10
	v_add_f32_e32 v61, v61, v48
	v_mul_f32_e32 v108, 0xbf2c7751, v34
	v_mul_f32_e32 v110, 0xbf65296c, v34
	;; [unrolled: 1-line block ×15, first 2 shown]
	v_add_f32_e32 v63, v63, v47
	v_add_f32_e32 v61, v61, v52
	v_fmac_f32_e32 v55, v116, v8
	v_fmac_f32_e32 v105, v120, v0
	v_fma_f32 v109, 0x3f6eb680, v106, -v107
	v_fmac_f32_e32 v107, 0x3f6eb680, v106
	v_fma_f32 v112, 0x3f3d2fb0, v106, -v108
	;; [unrolled: 2-line block ×8, first 2 shown]
	v_fmac_f32_e32 v34, 0xbf7ba420, v106
	v_fmamk_f32 v106, v127, 0x3f6eb680, v128
	v_fma_f32 v128, 0x3f6eb680, v127, -v128
	v_fmamk_f32 v132, v127, 0x3f3d2fb0, v130
	v_fmamk_f32 v135, v127, 0x3ee437d1, v131
	;; [unrolled: 1-line block ×7, first 2 shown]
	v_add_f32_e32 v63, v63, v51
	v_add_f32_e32 v61, v61, v56
	v_fma_f32 v130, 0x3f3d2fb0, v127, -v130
	v_fma_f32 v131, 0x3ee437d1, v127, -v131
	;; [unrolled: 1-line block ×7, first 2 shown]
	v_add_f32_e32 v127, v60, v128
	v_add_f32_e32 v128, v60, v132
	;; [unrolled: 1-line block ×10, first 2 shown]
	v_sub_f32_e32 v142, v124, v105
	v_add_f32_e32 v109, v59, v109
	v_add_f32_e32 v107, v59, v107
	;; [unrolled: 1-line block ×18, first 2 shown]
	v_sub_f32_e32 v63, v62, v104
	v_add_f32_e32 v62, v62, v104
	v_mul_f32_e32 v104, 0xbf2c7751, v142
	v_add_f32_e32 v106, v60, v106
	v_add_f32_e32 v130, v60, v130
	;; [unrolled: 1-line block ×9, first 2 shown]
	v_mul_f32_e32 v124, 0xbf2c7751, v63
	v_add_f32_e32 v60, v60, v119
	v_fma_f32 v119, 0x3f3d2fb0, v62, -v104
	v_add_f32_e32 v33, v61, v33
	v_add_f32_e32 v34, v34, v101
	v_fmamk_f32 v61, v105, 0x3f3d2fb0, v124
	v_mul_f32_e32 v101, 0xbf7ee86f, v142
	v_add_f32_e32 v109, v119, v109
	v_fmac_f32_e32 v104, 0x3f3d2fb0, v62
	v_fma_f32 v119, 0x3f3d2fb0, v105, -v124
	v_add_f32_e32 v61, v61, v106
	v_fma_f32 v106, 0x3dbcf732, v62, -v101
	v_mul_f32_e32 v124, 0xbf7ee86f, v63
	v_add_f32_e32 v104, v104, v107
	v_add_f32_e32 v107, v119, v127
	v_mul_f32_e32 v119, 0xbf4c4adb, v142
	v_add_f32_e32 v106, v106, v112
	v_fmamk_f32 v112, v105, 0x3dbcf732, v124
	v_fmac_f32_e32 v101, 0x3dbcf732, v62
	v_fma_f32 v124, 0x3dbcf732, v105, -v124
	v_fma_f32 v127, 0xbf1a4643, v62, -v119
	v_mul_f32_e32 v143, 0xbf4c4adb, v63
	v_add_f32_e32 v112, v112, v128
	v_add_f32_e32 v101, v101, v108
	;; [unrolled: 1-line block ×4, first 2 shown]
	v_fmamk_f32 v124, v105, 0xbf1a4643, v143
	v_mul_f32_e32 v127, 0xbe3c28d5, v142
	v_fmac_f32_e32 v119, 0xbf1a4643, v62
	v_fma_f32 v128, 0xbf1a4643, v105, -v143
	v_mul_f32_e32 v130, 0xbe3c28d5, v63
	v_add_f32_e32 v124, v124, v132
	v_fma_f32 v132, 0xbf7ba420, v62, -v127
	v_add_f32_e32 v110, v119, v110
	v_add_f32_e32 v119, v128, v131
	v_fmamk_f32 v128, v105, 0xbf7ba420, v130
	v_mul_f32_e32 v131, 0x3f06c442, v142
	v_fmac_f32_e32 v127, 0xbf7ba420, v62
	v_fma_f32 v130, 0xbf7ba420, v105, -v130
	v_add_f32_e32 v115, v132, v115
	v_add_f32_e32 v128, v128, v135
	v_fma_f32 v132, 0xbf59a7d5, v62, -v131
	v_mul_f32_e32 v135, 0x3f06c442, v63
	v_add_f32_e32 v111, v127, v111
	v_add_f32_e32 v127, v130, v133
	v_mul_f32_e32 v130, 0x3f763a35, v142
	v_add_f32_e32 v116, v132, v116
	v_fmamk_f32 v132, v105, 0xbf59a7d5, v135
	v_fmac_f32_e32 v131, 0xbf59a7d5, v62
	v_fma_f32 v133, 0xbf59a7d5, v105, -v135
	v_fma_f32 v135, 0xbe8c1d8e, v62, -v130
	v_mul_f32_e32 v143, 0x3f763a35, v63
	v_add_f32_e32 v132, v132, v136
	v_add_f32_e32 v113, v131, v113
	;; [unrolled: 1-line block ×4, first 2 shown]
	v_fmamk_f32 v133, v105, 0xbe8c1d8e, v143
	v_fmac_f32_e32 v130, 0xbe8c1d8e, v62
	v_mul_f32_e32 v134, 0x3f65296c, v142
	v_mul_f32_e32 v135, 0x3f65296c, v63
	v_fma_f32 v136, 0xbe8c1d8e, v105, -v143
	v_add_f32_e32 v133, v133, v137
	v_add_f32_e32 v117, v130, v117
	v_fma_f32 v130, 0x3ee437d1, v62, -v134
	v_fmamk_f32 v137, v105, 0x3ee437d1, v135
	v_add_f32_e32 v136, v136, v138
	v_fmac_f32_e32 v134, 0x3ee437d1, v62
	v_mul_f32_e32 v138, 0x3eb8f4ab, v142
	v_mul_f32_e32 v63, 0x3eb8f4ab, v63
	v_fma_f32 v135, 0x3ee437d1, v105, -v135
	v_add_f32_e32 v126, v130, v126
	v_add_f32_e32 v130, v137, v140
	;; [unrolled: 1-line block ×3, first 2 shown]
	v_fma_f32 v134, 0x3f6eb680, v62, -v138
	v_fmac_f32_e32 v138, 0x3f6eb680, v62
	v_fmamk_f32 v62, v105, 0x3f6eb680, v63
	v_sub_f32_e32 v137, v57, v103
	v_fma_f32 v63, 0x3f6eb680, v105, -v63
	v_add_f32_e32 v105, v135, v139
	v_sub_f32_e32 v135, v58, v102
	v_add_f32_e32 v58, v58, v102
	v_mul_f32_e32 v102, 0xbf65296c, v137
	v_add_f32_e32 v57, v57, v103
	v_add_f32_e32 v129, v134, v129
	v_mul_f32_e32 v103, 0xbf65296c, v135
	v_add_f32_e32 v59, v138, v59
	v_fma_f32 v134, 0x3ee437d1, v58, -v102
	v_add_f32_e32 v60, v63, v60
	v_mul_f32_e32 v138, 0xbf4c4adb, v137
	v_fmamk_f32 v63, v57, 0x3ee437d1, v103
	v_fmac_f32_e32 v102, 0x3ee437d1, v58
	v_add_f32_e32 v109, v134, v109
	v_fma_f32 v103, 0x3ee437d1, v57, -v103
	v_mul_f32_e32 v134, 0xbf4c4adb, v135
	v_add_f32_e32 v61, v63, v61
	v_fma_f32 v63, 0xbf1a4643, v58, -v138
	v_add_f32_e32 v102, v102, v104
	v_mul_f32_e32 v104, 0x3e3c28d5, v137
	v_add_f32_e32 v103, v103, v107
	v_fmac_f32_e32 v138, 0xbf1a4643, v58
	v_add_f32_e32 v63, v63, v106
	v_fmamk_f32 v106, v57, 0xbf1a4643, v134
	v_fma_f32 v107, 0xbf1a4643, v57, -v134
	v_fma_f32 v134, 0xbf7ba420, v58, -v104
	v_mul_f32_e32 v139, 0x3e3c28d5, v135
	v_add_f32_e32 v101, v138, v101
	v_add_f32_e32 v106, v106, v112
	v_add_f32_e32 v107, v107, v108
	v_add_f32_e32 v108, v134, v114
	v_fmamk_f32 v112, v57, 0xbf7ba420, v139
	v_mul_f32_e32 v114, 0x3f763a35, v137
	v_fmac_f32_e32 v104, 0xbf7ba420, v58
	v_fma_f32 v134, 0xbf7ba420, v57, -v139
	v_mul_f32_e32 v138, 0x3f763a35, v135
	v_add_f32_e32 v112, v112, v124
	v_fma_f32 v124, 0xbe8c1d8e, v58, -v114
	v_add_f32_e32 v104, v104, v110
	v_add_f32_e32 v110, v134, v119
	v_fmamk_f32 v119, v57, 0xbe8c1d8e, v138
	v_mul_f32_e32 v134, 0x3f2c7751, v137
	v_add_f32_e32 v115, v124, v115
	v_fmac_f32_e32 v114, 0xbe8c1d8e, v58
	v_fma_f32 v124, 0xbe8c1d8e, v57, -v138
	v_add_f32_e32 v119, v119, v128
	v_fma_f32 v128, 0x3f3d2fb0, v58, -v134
	v_mul_f32_e32 v138, 0x3f2c7751, v135
	v_add_f32_e32 v111, v114, v111
	v_add_f32_e32 v114, v124, v127
	v_mul_f32_e32 v124, 0xbeb8f4ab, v137
	v_add_f32_e32 v116, v128, v116
	v_fmamk_f32 v127, v57, 0x3f3d2fb0, v138
	v_fmac_f32_e32 v134, 0x3f3d2fb0, v58
	v_fma_f32 v128, 0x3f3d2fb0, v57, -v138
	v_mul_f32_e32 v139, 0xbeb8f4ab, v135
	v_fma_f32 v138, 0x3f6eb680, v58, -v124
	v_add_f32_e32 v127, v127, v132
	v_add_f32_e32 v113, v134, v113
	;; [unrolled: 1-line block ×3, first 2 shown]
	v_fmamk_f32 v131, v57, 0x3f6eb680, v139
	v_fmac_f32_e32 v124, 0x3f6eb680, v58
	v_mul_f32_e32 v132, 0xbf7ee86f, v137
	v_mul_f32_e32 v134, 0xbf7ee86f, v135
	;; [unrolled: 1-line block ×3, first 2 shown]
	v_add_f32_e32 v131, v131, v133
	v_add_f32_e32 v117, v124, v117
	v_fma_f32 v124, 0x3dbcf732, v58, -v132
	v_fmamk_f32 v133, v57, 0x3dbcf732, v134
	v_fmac_f32_e32 v132, 0x3dbcf732, v58
	v_add_f32_e32 v120, v138, v120
	v_fma_f32 v138, 0x3f6eb680, v57, -v139
	v_add_f32_e32 v124, v124, v126
	v_add_f32_e32 v126, v133, v130
	v_mul_f32_e32 v130, 0xbf06c442, v135
	v_add_f32_e32 v118, v132, v118
	v_fma_f32 v132, 0xbf59a7d5, v58, -v137
	v_fma_f32 v133, 0x3dbcf732, v57, -v134
	v_fmac_f32_e32 v137, 0xbf59a7d5, v58
	v_fmamk_f32 v58, v57, 0xbf59a7d5, v130
	v_sub_f32_e32 v134, v53, v55
	v_fma_f32 v57, 0xbf59a7d5, v57, -v130
	v_sub_f32_e32 v130, v54, v56
	v_add_f32_e32 v62, v62, v141
	v_add_f32_e32 v54, v54, v56
	v_mul_f32_e32 v56, 0xbf7ee86f, v134
	v_add_f32_e32 v53, v53, v55
	v_mul_f32_e32 v55, 0xbf7ee86f, v130
	v_add_f32_e32 v129, v132, v129
	v_add_f32_e32 v58, v58, v62
	v_fma_f32 v62, 0x3dbcf732, v54, -v56
	v_add_f32_e32 v57, v57, v60
	v_fmamk_f32 v60, v53, 0x3dbcf732, v55
	v_mul_f32_e32 v132, 0xbe3c28d5, v134
	v_fmac_f32_e32 v56, 0x3dbcf732, v54
	v_add_f32_e32 v62, v62, v109
	v_fma_f32 v55, 0x3dbcf732, v53, -v55
	v_add_f32_e32 v60, v60, v61
	v_fma_f32 v61, 0xbf7ba420, v54, -v132
	v_mul_f32_e32 v109, 0xbe3c28d5, v130
	v_add_f32_e32 v56, v56, v102
	v_mul_f32_e32 v102, 0x3f763a35, v134
	v_add_f32_e32 v105, v133, v105
	v_add_f32_e32 v55, v55, v103
	;; [unrolled: 1-line block ×3, first 2 shown]
	v_fmamk_f32 v63, v53, 0xbf7ba420, v109
	v_fma_f32 v103, 0xbf7ba420, v53, -v109
	v_fma_f32 v109, 0xbe8c1d8e, v54, -v102
	v_mul_f32_e32 v133, 0x3f763a35, v130
	v_fmac_f32_e32 v132, 0xbf7ba420, v54
	v_add_f32_e32 v63, v63, v106
	v_add_f32_e32 v103, v103, v107
	;; [unrolled: 1-line block ×3, first 2 shown]
	v_fmamk_f32 v107, v53, 0xbe8c1d8e, v133
	v_mul_f32_e32 v108, 0x3eb8f4ab, v134
	v_add_f32_e32 v101, v132, v101
	v_fmac_f32_e32 v102, 0xbe8c1d8e, v54
	v_fma_f32 v109, 0xbe8c1d8e, v53, -v133
	v_mul_f32_e32 v132, 0x3eb8f4ab, v130
	v_add_f32_e32 v107, v107, v112
	v_fma_f32 v112, 0x3f6eb680, v54, -v108
	v_add_f32_e32 v102, v102, v104
	v_add_f32_e32 v104, v109, v110
	v_fmamk_f32 v109, v53, 0x3f6eb680, v132
	v_mul_f32_e32 v110, 0xbf65296c, v134
	v_add_f32_e32 v112, v112, v115
	v_fmac_f32_e32 v108, 0x3f6eb680, v54
	v_fma_f32 v115, 0x3f6eb680, v53, -v132
	v_add_f32_e32 v109, v109, v119
	v_fma_f32 v119, 0x3ee437d1, v54, -v110
	v_mul_f32_e32 v132, 0xbf65296c, v130
	v_add_f32_e32 v108, v108, v111
	v_add_f32_e32 v111, v115, v114
	v_mul_f32_e32 v114, 0xbf06c442, v134
	v_add_f32_e32 v115, v119, v116
	v_fmamk_f32 v116, v53, 0x3ee437d1, v132
	v_fmac_f32_e32 v110, 0x3ee437d1, v54
	v_fma_f32 v119, 0x3ee437d1, v53, -v132
	v_fma_f32 v132, 0xbf59a7d5, v54, -v114
	v_mul_f32_e32 v133, 0xbf06c442, v130
	v_add_f32_e32 v116, v116, v127
	v_add_f32_e32 v110, v110, v113
	;; [unrolled: 1-line block ×4, first 2 shown]
	v_fmamk_f32 v120, v53, 0xbf59a7d5, v133
	v_fmac_f32_e32 v114, 0xbf59a7d5, v54
	v_mul_f32_e32 v127, 0x3f4c4adb, v134
	v_mul_f32_e32 v128, 0x3f4c4adb, v130
	v_fma_f32 v132, 0xbf59a7d5, v53, -v133
	v_add_f32_e32 v120, v120, v131
	v_add_f32_e32 v114, v114, v117
	v_fma_f32 v117, 0xbf1a4643, v54, -v127
	v_fmamk_f32 v131, v53, 0xbf1a4643, v128
	v_fmac_f32_e32 v127, 0xbf1a4643, v54
	v_mul_f32_e32 v133, 0x3f2c7751, v134
	v_fma_f32 v128, 0xbf1a4643, v53, -v128
	v_add_f32_e32 v117, v117, v124
	v_add_f32_e32 v124, v131, v126
	v_mul_f32_e32 v126, 0x3f2c7751, v130
	v_add_f32_e32 v118, v127, v118
	v_fma_f32 v127, 0x3f3d2fb0, v54, -v133
	v_fmac_f32_e32 v133, 0x3f3d2fb0, v54
	v_sub_f32_e32 v130, v49, v51
	v_fmamk_f32 v54, v53, 0x3f3d2fb0, v126
	v_fma_f32 v53, 0x3f3d2fb0, v53, -v126
	v_sub_f32_e32 v126, v50, v52
	v_add_f32_e32 v50, v50, v52
	v_mul_f32_e32 v52, 0xbf763a35, v130
	v_add_f32_e32 v49, v49, v51
	v_add_f32_e32 v105, v128, v105
	v_mul_f32_e32 v51, 0xbf763a35, v126
	v_add_f32_e32 v54, v54, v58
	v_fma_f32 v58, 0xbe8c1d8e, v50, -v52
	v_add_f32_e32 v53, v53, v57
	v_mul_f32_e32 v128, 0x3f06c442, v130
	v_fmamk_f32 v57, v49, 0xbe8c1d8e, v51
	v_fmac_f32_e32 v52, 0xbe8c1d8e, v50
	v_add_f32_e32 v58, v58, v62
	v_fma_f32 v51, 0xbe8c1d8e, v49, -v51
	v_mul_f32_e32 v62, 0x3f06c442, v126
	v_add_f32_e32 v57, v57, v60
	v_fma_f32 v60, 0xbf59a7d5, v50, -v128
	v_add_f32_e32 v127, v127, v129
	v_add_f32_e32 v52, v52, v56
	;; [unrolled: 1-line block ×3, first 2 shown]
	v_mul_f32_e32 v55, 0x3f2c7751, v130
	v_add_f32_e32 v56, v60, v61
	v_fmamk_f32 v60, v49, 0xbf59a7d5, v62
	v_fmac_f32_e32 v128, 0xbf59a7d5, v50
	v_fma_f32 v61, 0xbf59a7d5, v49, -v62
	v_mul_f32_e32 v129, 0x3f2c7751, v126
	v_fma_f32 v62, 0x3f3d2fb0, v50, -v55
	v_add_f32_e32 v60, v60, v63
	v_add_f32_e32 v63, v128, v101
	;; [unrolled: 1-line block ×3, first 2 shown]
	v_fmamk_f32 v101, v49, 0x3f3d2fb0, v129
	v_mul_f32_e32 v103, 0xbf65296c, v130
	v_add_f32_e32 v62, v62, v106
	v_fmac_f32_e32 v55, 0x3f3d2fb0, v50
	v_fma_f32 v106, 0x3f3d2fb0, v49, -v129
	v_mul_f32_e32 v128, 0xbf65296c, v126
	v_add_f32_e32 v101, v101, v107
	v_fma_f32 v107, 0x3ee437d1, v50, -v103
	v_add_f32_e32 v55, v55, v102
	v_add_f32_e32 v102, v106, v104
	v_fmamk_f32 v104, v49, 0x3ee437d1, v128
	v_mul_f32_e32 v106, 0xbe3c28d5, v130
	v_add_f32_e32 v107, v107, v112
	v_fmac_f32_e32 v103, 0x3ee437d1, v50
	v_fma_f32 v112, 0x3ee437d1, v49, -v128
	v_add_f32_e32 v104, v104, v109
	v_fma_f32 v109, 0xbf7ba420, v50, -v106
	v_mul_f32_e32 v128, 0xbe3c28d5, v126
	v_add_f32_e32 v103, v103, v108
	v_add_f32_e32 v108, v112, v111
	v_mul_f32_e32 v111, 0x3f7ee86f, v130
	v_add_f32_e32 v109, v109, v115
	v_fmamk_f32 v112, v49, 0xbf7ba420, v128
	v_fmac_f32_e32 v106, 0xbf7ba420, v50
	v_fma_f32 v115, 0xbf7ba420, v49, -v128
	v_fma_f32 v128, 0x3dbcf732, v50, -v111
	v_mul_f32_e32 v129, 0x3f7ee86f, v126
	v_add_f32_e32 v112, v112, v116
	v_add_f32_e32 v106, v106, v110
	;; [unrolled: 1-line block ×4, first 2 shown]
	v_fmamk_f32 v115, v49, 0x3dbcf732, v129
	v_fmac_f32_e32 v111, 0x3dbcf732, v50
	v_mul_f32_e32 v116, 0xbeb8f4ab, v130
	v_mul_f32_e32 v119, 0xbeb8f4ab, v126
	v_fma_f32 v128, 0x3dbcf732, v49, -v129
	v_add_f32_e32 v115, v115, v120
	v_add_f32_e32 v111, v111, v114
	v_fma_f32 v114, 0x3f6eb680, v50, -v116
	v_fmamk_f32 v120, v49, 0x3f6eb680, v119
	v_fma_f32 v119, 0x3f6eb680, v49, -v119
	v_fmac_f32_e32 v116, 0x3f6eb680, v50
	v_mul_f32_e32 v129, 0xbf4c4adb, v130
	v_add_f32_e32 v114, v114, v117
	v_add_f32_e32 v117, v120, v124
	v_mul_f32_e32 v120, 0xbf4c4adb, v126
	v_sub_f32_e32 v124, v45, v47
	v_add_f32_e32 v105, v119, v105
	v_sub_f32_e32 v119, v46, v48
	v_add_f32_e32 v116, v116, v118
	v_fma_f32 v118, 0xbf1a4643, v50, -v129
	v_fmac_f32_e32 v129, 0xbf1a4643, v50
	v_fmamk_f32 v50, v49, 0xbf1a4643, v120
	v_fma_f32 v49, 0xbf1a4643, v49, -v120
	v_add_f32_e32 v46, v46, v48
	v_mul_f32_e32 v48, 0xbf4c4adb, v124
	v_add_f32_e32 v45, v45, v47
	v_mul_f32_e32 v47, 0xbf4c4adb, v119
	v_add_f32_e32 v50, v50, v54
	v_add_f32_e32 v49, v49, v53
	v_fma_f32 v54, 0xbf1a4643, v46, -v48
	v_mul_f32_e32 v120, 0x3f763a35, v124
	v_fmamk_f32 v53, v45, 0xbf1a4643, v47
	v_fma_f32 v47, 0xbf1a4643, v45, -v47
	v_fmac_f32_e32 v48, 0xbf1a4643, v46
	v_add_f32_e32 v54, v54, v58
	v_mul_f32_e32 v58, 0x3f763a35, v119
	v_add_f32_e32 v53, v53, v57
	v_fma_f32 v57, 0xbe8c1d8e, v46, -v120
	v_add_f32_e32 v47, v47, v51
	v_mul_f32_e32 v51, 0xbeb8f4ab, v124
	v_add_f32_e32 v48, v48, v52
	v_fmac_f32_e32 v120, 0xbe8c1d8e, v46
	v_add_f32_e32 v52, v57, v56
	v_fmamk_f32 v56, v45, 0xbe8c1d8e, v58
	v_fma_f32 v57, 0xbe8c1d8e, v45, -v58
	v_fma_f32 v58, 0x3f6eb680, v46, -v51
	v_mul_f32_e32 v126, 0xbeb8f4ab, v119
	v_fmac_f32_e32 v51, 0x3f6eb680, v46
	v_add_f32_e32 v56, v56, v60
	v_add_f32_e32 v60, v120, v63
	v_add_f32_e32 v57, v57, v61
	v_add_f32_e32 v58, v58, v62
	v_fmamk_f32 v61, v45, 0x3f6eb680, v126
	v_mul_f32_e32 v62, 0xbf06c442, v124
	v_fma_f32 v63, 0x3f6eb680, v45, -v126
	v_mul_f32_e32 v120, 0xbf06c442, v119
	v_add_f32_e32 v51, v51, v55
	v_add_f32_e32 v61, v61, v101
	v_fma_f32 v101, 0xbf59a7d5, v46, -v62
	v_add_f32_e32 v55, v63, v102
	v_fmamk_f32 v63, v45, 0xbf59a7d5, v120
	v_mul_f32_e32 v102, 0x3f7ee86f, v124
	v_fmac_f32_e32 v62, 0xbf59a7d5, v46
	v_add_f32_e32 v101, v101, v107
	v_fma_f32 v107, 0xbf59a7d5, v45, -v120
	v_add_f32_e32 v63, v63, v104
	v_fma_f32 v104, 0x3dbcf732, v46, -v102
	v_mul_f32_e32 v120, 0x3f7ee86f, v119
	v_add_f32_e32 v136, v138, v136
	v_add_f32_e32 v62, v62, v103
	;; [unrolled: 1-line block ×3, first 2 shown]
	v_mul_f32_e32 v107, 0xbf2c7751, v124
	v_add_f32_e32 v104, v104, v109
	v_fmamk_f32 v108, v45, 0x3dbcf732, v120
	v_fmac_f32_e32 v102, 0x3dbcf732, v46
	v_fma_f32 v109, 0x3dbcf732, v45, -v120
	v_mul_f32_e32 v126, 0xbf2c7751, v119
	v_add_f32_e32 v132, v132, v136
	v_fma_f32 v120, 0x3f3d2fb0, v46, -v107
	v_add_f32_e32 v108, v108, v112
	v_add_f32_e32 v102, v102, v106
	;; [unrolled: 1-line block ×3, first 2 shown]
	v_fmamk_f32 v110, v45, 0x3f3d2fb0, v126
	v_mul_f32_e32 v112, 0xbe3c28d5, v124
	v_add_f32_e32 v128, v128, v132
	v_add_f32_e32 v109, v120, v113
	v_fmac_f32_e32 v107, 0x3f3d2fb0, v46
	v_fma_f32 v113, 0x3f3d2fb0, v45, -v126
	v_mul_f32_e32 v120, 0xbe3c28d5, v119
	v_add_f32_e32 v110, v110, v115
	v_fma_f32 v115, 0xbf7ba420, v46, -v112
	v_add_f32_e32 v107, v107, v111
	v_add_f32_e32 v111, v113, v128
	v_fmamk_f32 v113, v45, 0xbf7ba420, v120
	v_mul_f32_e32 v124, 0x3f65296c, v124
	v_add_f32_e32 v114, v115, v114
	v_fma_f32 v115, 0xbf7ba420, v45, -v120
	v_add_f32_e32 v118, v118, v127
	v_fmac_f32_e32 v112, 0xbf7ba420, v46
	v_add_f32_e32 v113, v113, v117
	v_fma_f32 v117, 0x3ee437d1, v46, -v124
	v_add_f32_e32 v105, v115, v105
	v_sub_f32_e32 v115, v41, v43
	v_mul_f32_e32 v119, 0x3f65296c, v119
	v_add_f32_e32 v112, v112, v116
	v_add_f32_e32 v116, v117, v118
	v_sub_f32_e32 v118, v42, v44
	v_add_f32_e32 v42, v42, v44
	v_mul_f32_e32 v44, 0xbf06c442, v115
	v_fmamk_f32 v117, v45, 0x3ee437d1, v119
	v_fmac_f32_e32 v124, 0x3ee437d1, v46
	v_fma_f32 v45, 0x3ee437d1, v45, -v119
	v_add_f32_e32 v41, v41, v43
	v_mul_f32_e32 v43, 0xbf06c442, v118
	v_fma_f32 v46, 0xbf59a7d5, v42, -v44
	v_fmac_f32_e32 v44, 0xbf59a7d5, v42
	v_add_f32_e32 v45, v45, v49
	v_add_f32_e32 v50, v117, v50
	v_fmamk_f32 v49, v41, 0xbf59a7d5, v43
	v_add_f32_e32 v46, v46, v54
	v_mul_f32_e32 v54, 0x3f65296c, v115
	v_fma_f32 v43, 0xbf59a7d5, v41, -v43
	v_mul_f32_e32 v117, 0x3f65296c, v118
	v_add_f32_e32 v49, v49, v53
	v_add_f32_e32 v44, v44, v48
	v_fma_f32 v53, 0x3ee437d1, v42, -v54
	v_mul_f32_e32 v48, 0xbf7ee86f, v115
	v_add_f32_e32 v43, v43, v47
	v_fmamk_f32 v47, v41, 0x3ee437d1, v117
	v_fmac_f32_e32 v54, 0x3ee437d1, v42
	v_add_f32_e32 v52, v53, v52
	v_fma_f32 v53, 0x3ee437d1, v41, -v117
	v_mul_f32_e32 v117, 0xbf7ee86f, v118
	v_fma_f32 v119, 0x3dbcf732, v42, -v48
	v_add_f32_e32 v47, v47, v56
	v_add_f32_e32 v54, v54, v60
	;; [unrolled: 1-line block ×3, first 2 shown]
	v_fmamk_f32 v56, v41, 0x3dbcf732, v117
	v_add_f32_e32 v57, v119, v58
	v_mul_f32_e32 v58, 0x3f4c4adb, v115
	v_fmac_f32_e32 v48, 0x3dbcf732, v42
	v_fma_f32 v60, 0x3dbcf732, v41, -v117
	v_mul_f32_e32 v117, 0x3f4c4adb, v118
	v_add_f32_e32 v56, v56, v61
	v_fma_f32 v61, 0xbf1a4643, v42, -v58
	v_add_f32_e32 v48, v48, v51
	v_add_f32_e32 v51, v60, v55
	v_mul_f32_e32 v60, 0xbeb8f4ab, v115
	v_fmamk_f32 v55, v41, 0xbf1a4643, v117
	v_add_f32_e32 v61, v61, v101
	v_fmac_f32_e32 v58, 0xbf1a4643, v42
	v_fma_f32 v101, 0xbf1a4643, v41, -v117
	v_mul_f32_e32 v117, 0xbeb8f4ab, v118
	v_fma_f32 v119, 0x3f6eb680, v42, -v60
	v_add_f32_e32 v55, v55, v63
	v_add_f32_e32 v58, v58, v62
	;; [unrolled: 1-line block ×3, first 2 shown]
	v_fmamk_f32 v63, v41, 0x3f6eb680, v117
	v_add_f32_e32 v101, v119, v104
	v_fmac_f32_e32 v60, 0x3f6eb680, v42
	v_mul_f32_e32 v103, 0xbe3c28d5, v115
	v_mul_f32_e32 v104, 0xbe3c28d5, v118
	v_fma_f32 v117, 0x3f6eb680, v41, -v117
	v_add_f32_e32 v63, v63, v108
	v_add_f32_e32 v60, v60, v102
	v_fma_f32 v102, 0xbf7ba420, v42, -v103
	v_fmamk_f32 v108, v41, 0xbf7ba420, v104
	v_add_f32_e32 v106, v117, v106
	v_mul_f32_e32 v117, 0x3f2c7751, v115
	v_fmac_f32_e32 v103, 0xbf7ba420, v42
	v_add_f32_e32 v102, v102, v109
	v_add_f32_e32 v108, v108, v110
	v_fma_f32 v104, 0xbf7ba420, v41, -v104
	v_fma_f32 v109, 0x3f3d2fb0, v42, -v117
	v_mul_f32_e32 v110, 0x3f2c7751, v118
	v_add_f32_e32 v103, v103, v107
	v_fmac_f32_e32 v117, 0x3f3d2fb0, v42
	v_add_f32_e32 v104, v104, v111
	v_add_f32_e32 v107, v109, v114
	v_fmamk_f32 v109, v41, 0x3f3d2fb0, v110
	v_mul_f32_e32 v111, 0xbf763a35, v115
	v_mul_f32_e32 v114, 0xbf763a35, v118
	v_fma_f32 v110, 0x3f3d2fb0, v41, -v110
	v_add_f32_e32 v112, v117, v112
	v_add_f32_e32 v109, v109, v113
	v_fma_f32 v113, 0xbe8c1d8e, v42, -v111
	v_sub_f32_e32 v117, v38, v39
	v_fmamk_f32 v115, v41, 0xbe8c1d8e, v114
	v_add_f32_e32 v105, v110, v105
	v_sub_f32_e32 v110, v36, v37
	v_add_f32_e32 v113, v113, v116
	v_add_f32_e32 v116, v38, v39
	v_fma_f32 v39, 0xbe8c1d8e, v41, -v114
	v_add_f32_e32 v114, v36, v37
	v_mul_f32_e32 v37, 0xbe3c28d5, v117
	v_mul_f32_e32 v38, 0xbe3c28d5, v110
	;; [unrolled: 1-line block ×3, first 2 shown]
	v_add_f32_e32 v118, v39, v45
	v_fmac_f32_e32 v111, 0xbe8c1d8e, v42
	v_fmamk_f32 v39, v114, 0xbf7ba420, v37
	v_fma_f32 v36, 0xbf7ba420, v116, -v38
	v_fmac_f32_e32 v38, 0xbf7ba420, v116
	v_fma_f32 v42, 0xbf7ba420, v114, -v37
	v_fma_f32 v45, 0x3f6eb680, v116, -v41
	v_add_f32_e32 v37, v39, v49
	v_mul_f32_e32 v39, 0x3eb8f4ab, v117
	v_add_f32_e32 v59, v137, v59
	v_add_f32_e32 v119, v38, v44
	v_add_f32_e32 v120, v42, v43
	v_add_f32_e32 v38, v45, v52
	v_mul_f32_e32 v45, 0xbf06c442, v110
	v_fmamk_f32 v42, v114, 0x3f6eb680, v39
	v_mul_f32_e32 v44, 0xbf06c442, v117
	v_add_f32_e32 v59, v133, v59
	v_add_f32_e32 v36, v36, v46
	v_fma_f32 v43, 0x3f6eb680, v114, -v39
	v_fma_f32 v46, 0xbf59a7d5, v116, -v45
	v_add_f32_e32 v39, v42, v47
	v_fmamk_f32 v47, v114, 0xbf59a7d5, v44
	v_mul_f32_e32 v49, 0x3f2c7751, v110
	v_add_f32_e32 v59, v129, v59
	v_add_f32_e32 v115, v115, v50
	;; [unrolled: 1-line block ×4, first 2 shown]
	v_fmac_f32_e32 v45, 0xbf59a7d5, v116
	v_fma_f32 v46, 0xbf59a7d5, v114, -v44
	v_add_f32_e32 v44, v47, v56
	v_mul_f32_e32 v50, 0x3f2c7751, v117
	v_fma_f32 v47, 0x3f3d2fb0, v116, -v49
	v_fmac_f32_e32 v49, 0x3f3d2fb0, v116
	v_fmac_f32_e32 v41, 0x3f6eb680, v116
	v_mul_f32_e32 v53, 0xbf4c4adb, v110
	v_mul_f32_e32 v52, 0xbf4c4adb, v117
	v_add_f32_e32 v59, v124, v59
	v_add_f32_e32 v45, v45, v48
	v_fmamk_f32 v48, v114, 0x3f3d2fb0, v50
	v_fma_f32 v50, 0x3f3d2fb0, v114, -v50
	v_add_f32_e32 v49, v49, v58
	v_mul_f32_e32 v57, 0x3f65296c, v110
	v_mul_f32_e32 v58, 0x3f65296c, v117
	v_add_f32_e32 v41, v41, v54
	v_add_f32_e32 v46, v46, v51
	v_fma_f32 v51, 0xbf1a4643, v116, -v53
	v_fmamk_f32 v54, v114, 0xbf1a4643, v52
	v_add_f32_e32 v111, v111, v59
	v_add_f32_e32 v47, v47, v61
	;; [unrolled: 1-line block ×4, first 2 shown]
	v_fmac_f32_e32 v53, 0xbf1a4643, v116
	v_fma_f32 v55, 0xbf1a4643, v114, -v52
	v_fma_f32 v56, 0x3ee437d1, v116, -v57
	v_fmamk_f32 v59, v114, 0x3ee437d1, v58
	v_mul_f32_e32 v61, 0xbf763a35, v110
	v_mul_f32_e32 v62, 0xbf763a35, v117
	v_add_f32_e32 v51, v51, v101
	v_add_f32_e32 v52, v54, v63
	v_fmac_f32_e32 v57, 0x3ee437d1, v116
	v_mul_f32_e32 v63, 0x3f7ee86f, v110
	v_mul_f32_e32 v101, 0x3f7ee86f, v117
	v_add_f32_e32 v53, v53, v60
	v_add_f32_e32 v54, v55, v106
	;; [unrolled: 1-line block ×4, first 2 shown]
	v_fma_f32 v59, 0xbe8c1d8e, v116, -v61
	v_fmamk_f32 v60, v114, 0xbe8c1d8e, v62
	v_fma_f32 v58, 0x3ee437d1, v114, -v58
	v_fmac_f32_e32 v61, 0xbe8c1d8e, v116
	v_add_f32_e32 v57, v57, v103
	v_fma_f32 v62, 0xbe8c1d8e, v114, -v62
	v_fma_f32 v102, 0x3dbcf732, v116, -v63
	v_fmamk_f32 v103, v114, 0x3dbcf732, v101
	v_fmac_f32_e32 v63, 0x3dbcf732, v116
	v_fma_f32 v35, 0x3dbcf732, v114, -v101
	v_lshl_add_u32 v124, v32, 3, v125
	v_add_f32_e32 v59, v59, v107
	v_add_f32_e32 v60, v60, v109
	;; [unrolled: 1-line block ×9, first 2 shown]
	v_add_nc_u32_e32 v126, 0xc00, v122
	ds_write2_b64 v124, v[33:34], v[36:37] offset1:17
	ds_write2_b64 v124, v[38:39], v[43:44] offset0:34 offset1:51
	ds_write2_b64 v124, v[47:48], v[51:52] offset0:68 offset1:85
	;; [unrolled: 1-line block ×7, first 2 shown]
	ds_write_b64 v124, v[119:120] offset:2176
	s_waitcnt lgkmcnt(0)
	s_barrier
	buffer_gl0_inv
	ds_read2_b64 v[32:35], v122 offset1:34
	ds_read2_b64 v[48:51], v40 offset0:33 offset1:67
	ds_read2_b64 v[36:39], v122 offset0:68 offset1:102
	;; [unrolled: 1-line block ×7, first 2 shown]
	v_add_co_u32 v101, s0, 0x110, v121
	v_add_co_ci_u32_e64 v102, null, 0, 0, s0
                                        ; implicit-def: $vgpr107
	s_and_saveexec_b32 s0, vcc_lo
	s_cbranch_execz .LBB0_3
; %bb.2:
	ds_read_b64 v[119:120], v122 offset:2176
	ds_read_b64 v[107:108], v122 offset:4488
	v_mov_b32_e32 v99, v101
	v_mov_b32_e32 v100, v102
.LBB0_3:
	s_or_b32 exec_lo, exec_lo, s0
	v_lshlrev_b32_e32 v127, 3, v121
	v_lshlrev_b64 v[99:100], 3, v[99:100]
	v_lshlrev_b32_e32 v101, 3, v101
	v_lshl_add_u32 v125, v121, 3, v125
	v_add_co_u32 v102, s0, s14, v127
	v_add_co_ci_u32_e64 v103, null, s15, 0, s0
	v_add_co_u32 v105, s0, 0x800, v102
	v_add_co_ci_u32_e64 v106, s0, 0, v103, s0
	v_add_co_u32 v99, s0, s14, v99
	global_load_dwordx2 v[101:102], v101, s[14:15]
	v_add_co_ci_u32_e64 v100, s0, s15, v100, s0
	v_add_co_u32 v99, s0, 0x800, v99
	s_clause 0x1
	global_load_dwordx2 v[117:118], v[105:106], off offset:400
	global_load_dwordx2 v[115:116], v[105:106], off offset:672
	v_add_co_ci_u32_e64 v100, s0, 0, v100, s0
	s_clause 0x5
	global_load_dwordx2 v[113:114], v[105:106], off offset:944
	global_load_dwordx2 v[111:112], v[105:106], off offset:1216
	;; [unrolled: 1-line block ×6, first 2 shown]
	s_waitcnt vmcnt(8) lgkmcnt(6)
	v_mul_f32_e32 v128, v49, v102
	v_mul_f32_e32 v129, v48, v102
	s_waitcnt vmcnt(7)
	v_mul_f32_e32 v130, v50, v118
	v_fma_f32 v48, v48, v101, -v128
	v_fmac_f32_e32 v129, v49, v101
	v_mul_f32_e32 v128, v51, v118
	s_waitcnt vmcnt(6) lgkmcnt(4)
	v_mul_f32_e32 v131, v61, v116
	v_mul_f32_e32 v132, v60, v116
	s_waitcnt vmcnt(5)
	v_mul_f32_e32 v133, v63, v114
	v_mul_f32_e32 v134, v62, v114
	s_waitcnt vmcnt(4) lgkmcnt(2)
	v_mul_f32_e32 v135, v57, v112
	v_mul_f32_e32 v136, v56, v112
	s_waitcnt vmcnt(3)
	v_mul_f32_e32 v137, v59, v110
	;; [unrolled: 6-line block ×3, first 2 shown]
	v_mul_f32_e32 v142, v54, v106
	v_sub_f32_e32 v48, v32, v48
	v_sub_f32_e32 v49, v33, v129
	s_waitcnt vmcnt(0)
	v_mul_f32_e32 v129, v108, v100
	v_mul_f32_e32 v143, v107, v100
	v_fma_f32 v50, v50, v117, -v128
	v_fmac_f32_e32 v130, v51, v117
	v_fma_f32 v51, v60, v115, -v131
	v_fmac_f32_e32 v132, v61, v115
	;; [unrolled: 2-line block ×7, first 2 shown]
	v_fma_f32 v32, v32, 2.0, -v48
	v_fma_f32 v33, v33, 2.0, -v49
	ds_write_b64 v125, v[48:49] offset:2312
	v_fma_f32 v62, v107, v99, -v129
	v_fmac_f32_e32 v143, v108, v99
	v_sub_f32_e32 v48, v34, v50
	v_sub_f32_e32 v49, v35, v130
	;; [unrolled: 1-line block ×16, first 2 shown]
	v_fma_f32 v34, v34, 2.0, -v48
	v_fma_f32 v35, v35, 2.0, -v49
	;; [unrolled: 1-line block ×14, first 2 shown]
	ds_write2_b64 v122, v[32:33], v[34:35] offset1:34
	ds_write_b64 v125, v[48:49] offset:2584
	ds_write_b64 v122, v[36:37] offset:544
	;; [unrolled: 1-line block ×9, first 2 shown]
	ds_write2_b64 v122, v[40:41], v[42:43] offset0:204 offset1:238
	ds_write2_b64 v126, v[58:59], v[60:61] offset0:109 offset1:143
	s_and_saveexec_b32 s0, vcc_lo
	s_cbranch_execz .LBB0_5
; %bb.4:
	v_fma_f32 v33, v120, 2.0, -v108
	v_fma_f32 v32, v119, 2.0, -v107
	ds_write_b64 v122, v[32:33] offset:2176
	ds_write_b64 v125, v[107:108] offset:4488
.LBB0_5:
	s_or_b32 exec_lo, exec_lo, s0
	v_add_co_u32 v36, s0, s12, v127
	v_add_co_ci_u32_e64 v37, null, s13, 0, s0
	s_waitcnt lgkmcnt(0)
	v_add_co_u32 v32, s0, 0x1000, v36
	v_add_co_ci_u32_e64 v33, s0, 0, v37, s0
	v_add_co_u32 v34, s0, 0x1210, v36
	v_add_co_ci_u32_e64 v35, s0, 0, v37, s0
	s_barrier
	buffer_gl0_inv
	s_clause 0x5
	global_load_dwordx2 v[119:120], v[32:33], off offset:528
	global_load_dwordx2 v[127:128], v[34:35], off offset:272
	;; [unrolled: 1-line block ×6, first 2 shown]
	v_add_co_u32 v32, s0, 0x1800, v36
	v_add_co_ci_u32_e64 v33, s0, 0, v37, s0
	s_clause 0x5
	global_load_dwordx2 v[137:138], v[34:35], off offset:1632
	global_load_dwordx2 v[139:140], v[34:35], off offset:1904
	;; [unrolled: 1-line block ×6, first 2 shown]
	v_add_co_u32 v34, s0, 0x2000, v36
	v_add_co_ci_u32_e64 v35, s0, 0, v37, s0
	s_clause 0x4
	global_load_dwordx2 v[149:150], v[32:33], off offset:1744
	global_load_dwordx2 v[151:152], v[32:33], off offset:2016
	;; [unrolled: 1-line block ×5, first 2 shown]
	ds_read2_b64 v[32:35], v122 offset1:34
	ds_read2_b64 v[36:39], v122 offset0:68 offset1:102
	ds_read2_b64 v[40:43], v122 offset0:136 offset1:170
	v_add_nc_u32_e32 v126, 0x800, v122
	ds_read2_b64 v[44:47], v122 offset0:204 offset1:238
	ds_read_b64 v[159:160], v122 offset:4352
	ds_read2_b64 v[48:51], v126 offset0:16 offset1:50
	ds_read2_b64 v[52:55], v126 offset0:84 offset1:118
	;; [unrolled: 1-line block ×4, first 2 shown]
	s_waitcnt vmcnt(16) lgkmcnt(8)
	v_mul_f32_e32 v161, v33, v120
	v_mul_f32_e32 v162, v32, v120
	s_waitcnt vmcnt(15)
	v_mul_f32_e32 v163, v35, v128
	v_mul_f32_e32 v120, v34, v128
	s_waitcnt vmcnt(14) lgkmcnt(7)
	v_mul_f32_e32 v164, v37, v130
	v_mul_f32_e32 v128, v36, v130
	s_waitcnt vmcnt(13)
	v_mul_f32_e32 v165, v39, v132
	v_mul_f32_e32 v130, v38, v132
	;; [unrolled: 6-line block ×8, first 2 shown]
	s_waitcnt vmcnt(0)
	v_mul_f32_e32 v178, v160, v158
	v_mul_f32_e32 v156, v159, v158
	v_fma_f32 v161, v32, v119, -v161
	v_fmac_f32_e32 v162, v33, v119
	v_fma_f32 v119, v34, v127, -v163
	v_fmac_f32_e32 v120, v35, v127
	;; [unrolled: 2-line block ×17, first 2 shown]
	ds_write2_b64 v122, v[161:162], v[119:120] offset1:34
	ds_write2_b64 v122, v[127:128], v[129:130] offset0:68 offset1:102
	ds_write2_b64 v122, v[131:132], v[133:134] offset0:136 offset1:170
	;; [unrolled: 1-line block ×7, first 2 shown]
	ds_write_b64 v122, v[155:156] offset:4352
	s_waitcnt lgkmcnt(0)
	s_barrier
	buffer_gl0_inv
	ds_read2_b64 v[52:55], v122 offset1:34
	ds_read_b64 v[119:120], v122 offset:4352
	ds_read2_b64 v[56:59], v122 offset0:68 offset1:102
	ds_read2_b64 v[40:43], v126 offset0:220 offset1:254
	;; [unrolled: 1-line block ×7, first 2 shown]
	s_waitcnt lgkmcnt(0)
	s_barrier
	buffer_gl0_inv
	v_add_f32_e32 v127, v52, v54
	v_add_f32_e32 v128, v53, v55
	;; [unrolled: 1-line block ×5, first 2 shown]
	v_sub_f32_e32 v134, v56, v42
	v_sub_f32_e32 v135, v57, v43
	v_add_f32_e32 v56, v127, v56
	v_add_f32_e32 v57, v128, v57
	v_sub_f32_e32 v131, v54, v119
	v_add_f32_e32 v54, v62, v32
	v_sub_f32_e32 v140, v33, v63
	v_add_f32_e32 v56, v56, v58
	v_add_f32_e32 v57, v57, v59
	;; [unrolled: 1-line block ×3, first 2 shown]
	v_sub_f32_e32 v142, v32, v62
	v_add_f32_e32 v130, v120, v55
	v_add_f32_e32 v32, v56, v32
	;; [unrolled: 1-line block ×3, first 2 shown]
	v_sub_f32_e32 v55, v55, v120
	v_add_f32_e32 v136, v40, v58
	v_mul_f32_e32 v128, 0x3f6eb680, v130
	v_add_f32_e32 v32, v32, v34
	v_add_f32_e32 v33, v33, v35
	v_mul_f32_e32 v127, 0xbeb8f4ab, v55
	v_mul_f32_e32 v143, 0xbf2c7751, v55
	v_add_f32_e32 v137, v41, v59
	v_add_f32_e32 v32, v32, v44
	;; [unrolled: 1-line block ×3, first 2 shown]
	v_sub_f32_e32 v138, v58, v40
	v_sub_f32_e32 v139, v59, v41
	v_mul_f32_e32 v144, 0x3f3d2fb0, v130
	v_add_f32_e32 v32, v32, v46
	v_add_f32_e32 v33, v33, v47
	v_mul_f32_e32 v145, 0xbf65296c, v55
	v_mul_f32_e32 v146, 0x3ee437d1, v130
	v_mul_f32_e32 v147, 0xbf7ee86f, v55
	v_add_f32_e32 v32, v32, v36
	v_add_f32_e32 v33, v33, v37
	v_mul_f32_e32 v148, 0x3dbcf732, v130
	v_mul_f32_e32 v149, 0xbf763a35, v55
	v_mul_f32_e32 v150, 0xbe8c1d8e, v130
	v_add_f32_e32 v32, v32, v38
	v_add_f32_e32 v33, v33, v39
	v_mul_f32_e32 v151, 0xbf4c4adb, v55
	v_mul_f32_e32 v152, 0xbf1a4643, v130
	v_mul_f32_e32 v153, 0xbf06c442, v55
	v_add_f32_e32 v32, v32, v48
	v_add_f32_e32 v33, v33, v49
	v_mul_f32_e32 v154, 0xbf59a7d5, v130
	v_mul_f32_e32 v55, 0xbe3c28d5, v55
	v_mul_f32_e32 v130, 0xbf7ba420, v130
	v_add_f32_e32 v32, v32, v50
	v_add_f32_e32 v33, v33, v51
	v_mul_f32_e32 v155, 0xbf2c7751, v135
	v_mul_f32_e32 v156, 0x3f3d2fb0, v133
	v_mul_f32_e32 v157, 0xbf7ee86f, v135
	v_add_f32_e32 v32, v32, v60
	v_add_f32_e32 v33, v33, v61
	v_fmamk_f32 v58, v129, 0x3f6eb680, v127
	v_fmamk_f32 v59, v131, 0x3eb8f4ab, v128
	v_fmac_f32_e32 v128, 0xbeb8f4ab, v131
	v_fmamk_f32 v187, v129, 0x3f3d2fb0, v143
	v_fma_f32 v143, 0x3f3d2fb0, v129, -v143
	v_add_f32_e32 v32, v32, v62
	v_add_f32_e32 v33, v33, v63
	v_mul_f32_e32 v158, 0x3dbcf732, v133
	v_mul_f32_e32 v159, 0xbf4c4adb, v135
	;; [unrolled: 1-line block ×15, first 2 shown]
	v_fma_f32 v127, 0x3f6eb680, v129, -v127
	v_fmamk_f32 v188, v131, 0x3f2c7751, v144
	v_fmac_f32_e32 v144, 0xbf2c7751, v131
	v_fmamk_f32 v189, v129, 0x3ee437d1, v145
	v_fmamk_f32 v190, v131, 0x3f65296c, v146
	v_fma_f32 v145, 0x3ee437d1, v129, -v145
	v_fmac_f32_e32 v146, 0xbf65296c, v131
	v_fmamk_f32 v191, v129, 0x3dbcf732, v147
	v_fmamk_f32 v192, v131, 0x3f7ee86f, v148
	v_fma_f32 v147, 0x3dbcf732, v129, -v147
	;; [unrolled: 4-line block ×6, first 2 shown]
	v_fmac_f32_e32 v130, 0xbe3c28d5, v131
	v_fmamk_f32 v129, v132, 0x3f3d2fb0, v155
	v_fmamk_f32 v131, v134, 0x3f2c7751, v156
	v_fmac_f32_e32 v156, 0xbf2c7751, v134
	v_fmamk_f32 v201, v132, 0x3dbcf732, v157
	v_fma_f32 v157, 0x3dbcf732, v132, -v157
	v_add_f32_e32 v58, v52, v58
	v_add_f32_e32 v59, v53, v59
	;; [unrolled: 1-line block ×6, first 2 shown]
	v_mul_f32_e32 v169, 0xbf65296c, v139
	v_mul_f32_e32 v172, 0xbf1a4643, v137
	;; [unrolled: 1-line block ×16, first 2 shown]
	v_fma_f32 v155, 0x3f3d2fb0, v132, -v155
	v_fmamk_f32 v203, v132, 0xbf1a4643, v159
	v_fmamk_f32 v204, v134, 0x3f4c4adb, v160
	v_fma_f32 v159, 0xbf1a4643, v132, -v159
	v_fmamk_f32 v205, v132, 0xbf7ba420, v161
	v_fma_f32 v161, 0xbf7ba420, v132, -v161
	;; [unrolled: 2-line block ×5, first 2 shown]
	v_fmamk_f32 v213, v132, 0x3f6eb680, v135
	v_fmamk_f32 v214, v134, 0xbeb8f4ab, v133
	v_fma_f32 v132, 0x3f6eb680, v132, -v135
	v_fmac_f32_e32 v133, 0x3eb8f4ab, v134
	v_fmamk_f32 v135, v138, 0x3f65296c, v170
	v_fmac_f32_e32 v170, 0xbf65296c, v138
	v_fmamk_f32 v215, v136, 0xbf1a4643, v171
	v_fma_f32 v171, 0xbf1a4643, v136, -v171
	v_add_f32_e32 v127, v52, v127
	v_add_f32_e32 v187, v52, v187
	;; [unrolled: 1-line block ×34, first 2 shown]
	v_mul_f32_e32 v183, 0xbf7ee86f, v140
	v_fmamk_f32 v202, v134, 0x3f7ee86f, v158
	v_fmac_f32_e32 v158, 0xbf7ee86f, v134
	v_fmac_f32_e32 v160, 0xbf4c4adb, v134
	v_fmamk_f32 v206, v134, 0x3e3c28d5, v162
	v_fmac_f32_e32 v162, 0xbe3c28d5, v134
	v_fmamk_f32 v208, v134, 0xbf06c442, v164
	;; [unrolled: 2-line block ×5, first 2 shown]
	v_fma_f32 v169, 0x3ee437d1, v136, -v169
	v_fmamk_f32 v217, v136, 0xbf7ba420, v173
	v_fmamk_f32 v218, v138, 0xbe3c28d5, v174
	v_fma_f32 v173, 0xbf7ba420, v136, -v173
	v_fmamk_f32 v219, v136, 0xbe8c1d8e, v175
	v_fma_f32 v175, 0xbe8c1d8e, v136, -v175
	;; [unrolled: 2-line block ×5, first 2 shown]
	v_fmamk_f32 v227, v136, 0xbf59a7d5, v139
	v_fmamk_f32 v228, v138, 0x3f06c442, v137
	v_fma_f32 v136, 0xbf59a7d5, v136, -v139
	v_fmac_f32_e32 v137, 0xbf06c442, v138
	v_fmamk_f32 v139, v142, 0x3f7ee86f, v184
	v_fmac_f32_e32 v184, 0xbf7ee86f, v142
	v_add_f32_e32 v57, v155, v127
	v_add_f32_e32 v59, v201, v187
	;; [unrolled: 1-line block ×9, first 2 shown]
	v_fma_f32 v119, 0xbf7ba420, v54, -v185
	v_mul_f32_e32 v120, 0xbe8c1d8e, v141
	v_mul_f32_e32 v186, 0xbf7ba420, v141
	v_fmamk_f32 v216, v138, 0x3f4c4adb, v172
	v_fmac_f32_e32 v172, 0xbf4c4adb, v138
	v_fmac_f32_e32 v174, 0x3e3c28d5, v138
	v_fmamk_f32 v220, v138, 0xbf763a35, v176
	v_fmac_f32_e32 v176, 0x3f763a35, v138
	v_fmamk_f32 v222, v138, 0xbf2c7751, v178
	;; [unrolled: 2-line block ×5, first 2 shown]
	v_fma_f32 v183, 0x3dbcf732, v54, -v183
	v_fmamk_f32 v229, v54, 0xbf7ba420, v185
	v_add_f32_e32 v127, v202, v188
	v_add_f32_e32 v129, v158, v144
	;; [unrolled: 1-line block ×12, first 2 shown]
	v_mul_f32_e32 v58, 0x3f763a35, v140
	v_add_f32_e32 v119, v119, v128
	v_fmamk_f32 v128, v142, 0xbf763a35, v120
	v_add_f32_e32 v143, v159, v145
	v_add_f32_e32 v146, v206, v192
	;; [unrolled: 1-line block ×10, first 2 shown]
	v_fmamk_f32 v59, v142, 0x3e3c28d5, v186
	v_fmac_f32_e32 v186, 0xbe3c28d5, v142
	v_fmamk_f32 v136, v54, 0xbe8c1d8e, v58
	v_fmac_f32_e32 v120, 0x3f763a35, v142
	v_add_f32_e32 v128, v128, v131
	v_mul_f32_e32 v131, 0x3f6eb680, v141
	v_add_f32_e32 v145, v205, v191
	v_add_f32_e32 v132, v173, v143
	;; [unrolled: 1-line block ×6, first 2 shown]
	v_mul_f32_e32 v130, 0x3eb8f4ab, v140
	v_fma_f32 v58, 0xbe8c1d8e, v54, -v58
	v_add_f32_e32 v120, v120, v133
	v_fmamk_f32 v133, v142, 0xbeb8f4ab, v131
	v_add_f32_e32 v155, v207, v193
	v_add_f32_e32 v156, v208, v194
	;; [unrolled: 1-line block ×3, first 2 shown]
	v_fmamk_f32 v136, v54, 0x3f6eb680, v130
	v_add_f32_e32 v58, v58, v132
	v_mul_f32_e32 v132, 0xbf65296c, v140
	v_add_f32_e32 v133, v133, v135
	v_mul_f32_e32 v135, 0x3ee437d1, v141
	v_add_f32_e32 v147, v161, v147
	v_add_f32_e32 v148, v162, v148
	;; [unrolled: 1-line block ×7, first 2 shown]
	v_fmamk_f32 v136, v54, 0x3ee437d1, v132
	v_fmamk_f32 v138, v142, 0x3f65296c, v135
	v_add_f32_e32 v153, v167, v153
	v_add_f32_e32 v154, v168, v154
	;; [unrolled: 1-line block ×7, first 2 shown]
	v_fma_f32 v132, 0x3ee437d1, v54, -v132
	v_fmac_f32_e32 v135, 0xbf65296c, v142
	v_add_f32_e32 v138, v138, v146
	v_mul_f32_e32 v145, 0x3f4c4adb, v140
	v_mul_f32_e32 v146, 0xbf1a4643, v141
	v_add_f32_e32 v157, v209, v195
	v_add_f32_e32 v160, v212, v198
	;; [unrolled: 1-line block ×4, first 2 shown]
	v_fma_f32 v130, 0x3f6eb680, v54, -v130
	v_mul_f32_e32 v137, 0xbf06c442, v140
	v_add_f32_e32 v132, v132, v147
	v_add_f32_e32 v135, v135, v148
	v_fmamk_f32 v147, v54, 0xbf1a4643, v145
	v_fmamk_f32 v148, v142, 0xbf4c4adb, v146
	v_fma_f32 v145, 0xbf1a4643, v54, -v145
	v_fmac_f32_e32 v146, 0x3f4c4adb, v142
	v_add_f32_e32 v149, v223, v157
	v_add_f32_e32 v62, v226, v160
	;; [unrolled: 1-line block ×3, first 2 shown]
	v_mul_f32_e32 v139, 0xbf59a7d5, v141
	v_fmamk_f32 v143, v54, 0xbf59a7d5, v137
	v_mul_f32_e32 v140, 0x3f2c7751, v140
	v_mul_f32_e32 v141, 0x3f3d2fb0, v141
	v_add_f32_e32 v63, v145, v63
	v_add_f32_e32 v145, v146, v153
	v_sub_f32_e32 v146, v35, v61
	v_add_f32_e32 v35, v61, v35
	v_fmac_f32_e32 v131, 0x3eb8f4ab, v142
	v_add_f32_e32 v143, v143, v149
	v_fma_f32 v137, 0xbf59a7d5, v54, -v137
	v_fmamk_f32 v149, v54, 0x3f3d2fb0, v140
	v_add_f32_e32 v62, v148, v62
	v_fmamk_f32 v148, v142, 0xbf2c7751, v141
	v_fma_f32 v54, 0x3f3d2fb0, v54, -v140
	v_add_f32_e32 v61, v60, v34
	v_mul_f32_e32 v140, 0xbf763a35, v146
	v_fmac_f32_e32 v141, 0x3f2c7751, v142
	v_sub_f32_e32 v34, v34, v60
	v_mul_f32_e32 v60, 0xbe8c1d8e, v35
	v_add_f32_e32 v162, v214, v200
	v_add_f32_e32 v131, v131, v144
	v_fmamk_f32 v144, v142, 0x3f06c442, v139
	v_fmac_f32_e32 v139, 0xbf06c442, v142
	v_fmamk_f32 v142, v61, 0xbe8c1d8e, v140
	v_add_f32_e32 v52, v54, v52
	v_add_f32_e32 v42, v141, v42
	v_fmamk_f32 v54, v34, 0x3f763a35, v60
	v_mul_f32_e32 v141, 0x3f06c442, v146
	v_fmac_f32_e32 v60, 0xbf763a35, v34
	v_add_f32_e32 v41, v228, v162
	v_add_f32_e32 v43, v142, v43
	v_fma_f32 v140, 0xbe8c1d8e, v61, -v140
	v_add_f32_e32 v53, v54, v53
	v_fmamk_f32 v54, v61, 0xbf59a7d5, v141
	v_mul_f32_e32 v142, 0xbf59a7d5, v35
	v_add_f32_e32 v56, v60, v56
	v_mul_f32_e32 v60, 0x3f2c7751, v146
	v_add_f32_e32 v41, v148, v41
	v_add_f32_e32 v55, v140, v55
	;; [unrolled: 1-line block ×3, first 2 shown]
	v_fmamk_f32 v57, v34, 0xbf06c442, v142
	v_fma_f32 v140, 0xbf59a7d5, v61, -v141
	v_fmac_f32_e32 v142, 0x3f06c442, v34
	v_fmamk_f32 v141, v61, 0x3f3d2fb0, v60
	v_mul_f32_e32 v148, 0x3f3d2fb0, v35
	v_add_f32_e32 v57, v57, v59
	v_add_f32_e32 v59, v140, v119
	;; [unrolled: 1-line block ×4, first 2 shown]
	v_fmamk_f32 v129, v34, 0xbf2c7751, v148
	v_mul_f32_e32 v140, 0xbf65296c, v146
	v_fma_f32 v60, 0x3f3d2fb0, v61, -v60
	v_fmac_f32_e32 v148, 0x3f2c7751, v34
	v_mul_f32_e32 v141, 0x3ee437d1, v35
	v_add_f32_e32 v128, v129, v128
	v_fmamk_f32 v129, v61, 0x3ee437d1, v140
	v_add_f32_e32 v58, v60, v58
	v_add_f32_e32 v60, v148, v120
	v_fmamk_f32 v120, v34, 0x3f65296c, v141
	v_mul_f32_e32 v142, 0xbe3c28d5, v146
	v_add_f32_e32 v129, v129, v134
	v_fma_f32 v134, 0x3ee437d1, v61, -v140
	v_fmac_f32_e32 v141, 0xbf65296c, v34
	v_add_f32_e32 v158, v210, v196
	v_add_f32_e32 v151, v165, v151
	;; [unrolled: 1-line block ×3, first 2 shown]
	v_fmamk_f32 v133, v61, 0xbf7ba420, v142
	v_mul_f32_e32 v140, 0xbf7ba420, v35
	v_add_f32_e32 v130, v134, v130
	v_add_f32_e32 v131, v141, v131
	v_mul_f32_e32 v134, 0x3f7ee86f, v146
	v_fma_f32 v141, 0xbf7ba420, v61, -v142
	v_add_f32_e32 v150, v224, v158
	v_add_f32_e32 v151, v179, v151
	;; [unrolled: 1-line block ×3, first 2 shown]
	v_fmamk_f32 v136, v34, 0x3e3c28d5, v140
	v_fmac_f32_e32 v140, 0xbe3c28d5, v34
	v_fmamk_f32 v142, v61, 0x3dbcf732, v134
	v_mul_f32_e32 v148, 0x3dbcf732, v35
	v_add_f32_e32 v132, v141, v132
	v_mul_f32_e32 v141, 0xbeb8f4ab, v146
	v_add_f32_e32 v161, v213, v199
	v_add_f32_e32 v144, v144, v150
	;; [unrolled: 1-line block ×6, first 2 shown]
	v_fmamk_f32 v140, v34, 0xbf7ee86f, v148
	v_fma_f32 v134, 0x3dbcf732, v61, -v134
	v_mul_f32_e32 v142, 0x3f6eb680, v35
	v_fmamk_f32 v143, v61, 0x3f6eb680, v141
	v_fma_f32 v141, 0x3f6eb680, v61, -v141
	v_add_f32_e32 v40, v227, v161
	v_add_f32_e32 v140, v140, v144
	;; [unrolled: 1-line block ×3, first 2 shown]
	v_fmamk_f32 v137, v34, 0x3eb8f4ab, v142
	v_mul_f32_e32 v144, 0xbf4c4adb, v146
	v_fmac_f32_e32 v142, 0xbeb8f4ab, v34
	v_add_f32_e32 v63, v141, v63
	v_sub_f32_e32 v141, v45, v51
	v_add_f32_e32 v40, v149, v40
	v_add_f32_e32 v62, v137, v62
	v_fmamk_f32 v137, v61, 0xbf1a4643, v144
	v_mul_f32_e32 v35, 0xbf1a4643, v35
	v_add_f32_e32 v142, v142, v145
	v_add_f32_e32 v145, v50, v44
	v_mul_f32_e32 v146, 0xbf4c4adb, v141
	v_add_f32_e32 v45, v51, v45
	v_fmac_f32_e32 v148, 0x3f7ee86f, v34
	v_add_f32_e32 v40, v137, v40
	v_fmamk_f32 v137, v34, 0x3f4c4adb, v35
	v_fma_f32 v51, 0xbf1a4643, v61, -v144
	v_fmac_f32_e32 v35, 0xbf4c4adb, v34
	v_sub_f32_e32 v34, v44, v50
	v_fmamk_f32 v44, v145, 0xbf1a4643, v146
	v_mul_f32_e32 v50, 0xbf1a4643, v45
	v_add_f32_e32 v51, v51, v52
	v_add_f32_e32 v35, v35, v42
	v_fma_f32 v52, 0xbf1a4643, v145, -v146
	v_add_f32_e32 v42, v44, v43
	v_fmamk_f32 v43, v34, 0x3f4c4adb, v50
	v_mul_f32_e32 v44, 0x3f763a35, v141
	v_fmac_f32_e32 v50, 0xbf4c4adb, v34
	v_mul_f32_e32 v61, 0xbe8c1d8e, v45
	v_add_f32_e32 v52, v52, v55
	v_add_f32_e32 v43, v43, v53
	v_fmamk_f32 v53, v145, 0xbe8c1d8e, v44
	v_add_f32_e32 v50, v50, v56
	v_fmamk_f32 v55, v34, 0xbf763a35, v61
	v_mul_f32_e32 v56, 0xbeb8f4ab, v141
	v_fma_f32 v44, 0xbe8c1d8e, v145, -v44
	v_fmac_f32_e32 v61, 0x3f763a35, v34
	v_add_f32_e32 v53, v53, v54
	v_add_f32_e32 v54, v55, v57
	v_fmamk_f32 v55, v145, 0x3f6eb680, v56
	v_mul_f32_e32 v57, 0x3f6eb680, v45
	v_add_f32_e32 v44, v44, v59
	v_add_f32_e32 v59, v61, v119
	v_mul_f32_e32 v61, 0xbf06c442, v141
	v_add_f32_e32 v41, v137, v41
	v_add_f32_e32 v55, v55, v127
	v_fmamk_f32 v119, v34, 0x3eb8f4ab, v57
	v_fma_f32 v56, 0x3f6eb680, v145, -v56
	v_fmac_f32_e32 v57, 0xbeb8f4ab, v34
	v_fmamk_f32 v127, v145, 0xbf59a7d5, v61
	v_mul_f32_e32 v137, 0xbf59a7d5, v45
	v_add_f32_e32 v152, v166, v152
	v_add_f32_e32 v159, v211, v197
	;; [unrolled: 1-line block ×6, first 2 shown]
	v_fmamk_f32 v60, v34, 0x3f06c442, v137
	v_mul_f32_e32 v127, 0x3f7ee86f, v141
	v_fma_f32 v61, 0xbf59a7d5, v145, -v61
	v_fmac_f32_e32 v137, 0xbf06c442, v34
	v_mul_f32_e32 v128, 0x3dbcf732, v45
	v_add_f32_e32 v152, v180, v152
	v_add_f32_e32 v155, v225, v159
	;; [unrolled: 1-line block ×3, first 2 shown]
	v_fmamk_f32 v120, v145, 0x3dbcf732, v127
	v_add_f32_e32 v61, v61, v130
	v_add_f32_e32 v129, v137, v131
	v_fmamk_f32 v130, v34, 0xbf7ee86f, v128
	v_mul_f32_e32 v131, 0xbf2c7751, v141
	v_fma_f32 v127, 0x3dbcf732, v145, -v127
	v_add_f32_e32 v139, v139, v152
	v_add_f32_e32 v147, v147, v155
	;; [unrolled: 1-line block ×3, first 2 shown]
	v_fmac_f32_e32 v128, 0x3f7ee86f, v34
	v_add_f32_e32 v130, v130, v136
	v_fmamk_f32 v133, v145, 0x3f3d2fb0, v131
	v_mul_f32_e32 v136, 0x3f3d2fb0, v45
	v_add_f32_e32 v127, v127, v132
	v_mul_f32_e32 v132, 0xbe3c28d5, v141
	v_add_f32_e32 v139, v148, v139
	v_add_f32_e32 v143, v143, v147
	;; [unrolled: 1-line block ×4, first 2 shown]
	v_fmamk_f32 v135, v34, 0x3f2c7751, v136
	v_fma_f32 v131, 0x3f3d2fb0, v145, -v131
	v_fmac_f32_e32 v136, 0xbf2c7751, v34
	v_fmamk_f32 v137, v145, 0xbf7ba420, v132
	v_mul_f32_e32 v138, 0xbf7ba420, v45
	v_fma_f32 v132, 0xbf7ba420, v145, -v132
	v_add_f32_e32 v131, v131, v134
	v_add_f32_e32 v134, v136, v139
	;; [unrolled: 1-line block ×3, first 2 shown]
	v_fmamk_f32 v137, v34, 0x3e3c28d5, v138
	v_mul_f32_e32 v139, 0x3f65296c, v141
	v_fmac_f32_e32 v138, 0xbe3c28d5, v34
	v_mul_f32_e32 v45, 0x3ee437d1, v45
	v_add_f32_e32 v63, v132, v63
	v_add_f32_e32 v62, v137, v62
	v_fmamk_f32 v137, v145, 0x3ee437d1, v139
	v_add_f32_e32 v132, v138, v142
	v_sub_f32_e32 v138, v47, v49
	v_add_f32_e32 v47, v49, v47
	v_add_f32_e32 v135, v135, v140
	v_fmamk_f32 v140, v34, 0xbf65296c, v45
	v_add_f32_e32 v40, v137, v40
	v_add_f32_e32 v137, v48, v46
	v_mul_f32_e32 v49, 0xbf06c442, v138
	v_fma_f32 v139, 0x3ee437d1, v145, -v139
	v_fmac_f32_e32 v45, 0x3f65296c, v34
	v_sub_f32_e32 v34, v46, v48
	v_mul_f32_e32 v46, 0xbf59a7d5, v47
	v_fmamk_f32 v48, v137, 0xbf59a7d5, v49
	v_add_f32_e32 v51, v139, v51
	v_add_f32_e32 v35, v45, v35
	v_mul_f32_e32 v45, 0x3f65296c, v138
	v_fmamk_f32 v139, v34, 0x3f06c442, v46
	v_add_f32_e32 v42, v48, v42
	v_fma_f32 v48, 0xbf59a7d5, v137, -v49
	v_fmac_f32_e32 v46, 0xbf06c442, v34
	v_fmamk_f32 v49, v137, 0x3ee437d1, v45
	v_add_f32_e32 v43, v139, v43
	v_mul_f32_e32 v139, 0x3ee437d1, v47
	v_add_f32_e32 v48, v48, v52
	v_add_f32_e32 v46, v46, v50
	;; [unrolled: 1-line block ×3, first 2 shown]
	v_mul_f32_e32 v53, 0x3dbcf732, v47
	v_fmamk_f32 v52, v34, 0xbf65296c, v139
	v_mul_f32_e32 v50, 0xbf7ee86f, v138
	v_fma_f32 v45, 0x3ee437d1, v137, -v45
	v_fmac_f32_e32 v139, 0x3f65296c, v34
	v_add_f32_e32 v41, v140, v41
	v_add_f32_e32 v52, v52, v54
	v_fmamk_f32 v54, v34, 0x3f7ee86f, v53
	v_fmamk_f32 v140, v137, 0x3dbcf732, v50
	v_add_f32_e32 v44, v45, v44
	v_add_f32_e32 v45, v139, v59
	v_mul_f32_e32 v59, 0x3f4c4adb, v138
	v_fma_f32 v50, 0x3dbcf732, v137, -v50
	v_fmac_f32_e32 v53, 0xbf7ee86f, v34
	v_add_f32_e32 v54, v54, v119
	v_mul_f32_e32 v119, 0xbf1a4643, v47
	v_fmamk_f32 v139, v137, 0xbf1a4643, v59
	v_add_f32_e32 v50, v50, v56
	v_add_f32_e32 v53, v53, v57
	v_mul_f32_e32 v56, 0xbeb8f4ab, v138
	v_fmamk_f32 v57, v34, 0xbf4c4adb, v119
	v_add_f32_e32 v58, v139, v58
	v_fma_f32 v59, 0xbf1a4643, v137, -v59
	v_fmac_f32_e32 v119, 0x3f4c4adb, v34
	v_fmamk_f32 v139, v137, 0x3f6eb680, v56
	v_add_f32_e32 v57, v57, v60
	v_mul_f32_e32 v60, 0x3f6eb680, v47
	v_add_f32_e32 v59, v59, v61
	v_add_f32_e32 v61, v119, v129
	;; [unrolled: 1-line block ×3, first 2 shown]
	v_mul_f32_e32 v120, 0xbe3c28d5, v138
	v_fmamk_f32 v129, v34, 0x3eb8f4ab, v60
	v_fma_f32 v56, 0x3f6eb680, v137, -v56
	v_mul_f32_e32 v139, 0xbf7ba420, v47
	v_add_f32_e32 v55, v140, v55
	v_fmac_f32_e32 v60, 0xbeb8f4ab, v34
	v_fmamk_f32 v140, v137, 0xbf7ba420, v120
	v_add_f32_e32 v129, v129, v130
	v_add_f32_e32 v56, v56, v127
	v_fmamk_f32 v127, v34, 0x3e3c28d5, v139
	v_mul_f32_e32 v130, 0x3f2c7751, v138
	v_fma_f32 v120, 0xbf7ba420, v137, -v120
	v_fmac_f32_e32 v139, 0xbe3c28d5, v34
	v_add_f32_e32 v60, v60, v128
	v_add_f32_e32 v128, v140, v133
	;; [unrolled: 1-line block ×3, first 2 shown]
	v_mul_f32_e32 v133, 0x3f3d2fb0, v47
	v_fmamk_f32 v135, v137, 0x3f3d2fb0, v130
	v_add_f32_e32 v120, v120, v131
	v_add_f32_e32 v131, v139, v134
	v_mul_f32_e32 v134, 0xbf763a35, v138
	v_fmamk_f32 v138, v34, 0xbf2c7751, v133
	v_add_f32_e32 v135, v135, v136
	v_fma_f32 v130, 0x3f3d2fb0, v137, -v130
	v_fmac_f32_e32 v133, 0x3f2c7751, v34
	v_fmamk_f32 v136, v137, 0xbe8c1d8e, v134
	v_mul_f32_e32 v47, 0xbe8c1d8e, v47
	v_add_f32_e32 v62, v138, v62
	v_add_f32_e32 v63, v130, v63
	;; [unrolled: 1-line block ×4, first 2 shown]
	v_sub_f32_e32 v133, v37, v39
	v_add_f32_e32 v136, v39, v37
	v_fmamk_f32 v40, v34, 0x3f763a35, v47
	v_fma_f32 v134, 0xbe8c1d8e, v137, -v134
	v_add_f32_e32 v137, v38, v36
	v_mul_f32_e32 v37, 0xbe3c28d5, v133
	v_fmac_f32_e32 v47, 0xbf763a35, v34
	v_sub_f32_e32 v138, v36, v38
	v_mul_f32_e32 v38, 0xbf7ba420, v136
	v_mul_f32_e32 v39, 0x3eb8f4ab, v133
	v_add_f32_e32 v139, v40, v41
	v_fmamk_f32 v34, v137, 0xbf7ba420, v37
	v_add_f32_e32 v140, v47, v35
	v_fmamk_f32 v35, v138, 0x3e3c28d5, v38
	v_fmac_f32_e32 v38, 0xbe3c28d5, v138
	v_fmamk_f32 v40, v137, 0x3f6eb680, v39
	v_mul_f32_e32 v41, 0x3f6eb680, v136
	v_add_f32_e32 v34, v34, v42
	v_fma_f32 v36, 0xbf7ba420, v137, -v37
	v_add_f32_e32 v35, v35, v43
	v_add_f32_e32 v37, v38, v46
	v_mul_f32_e32 v43, 0xbf06c442, v133
	v_add_f32_e32 v38, v40, v49
	v_fmamk_f32 v40, v138, 0xbeb8f4ab, v41
	v_fma_f32 v42, 0x3f6eb680, v137, -v39
	v_fmac_f32_e32 v41, 0x3eb8f4ab, v138
	v_mul_f32_e32 v47, 0xbf59a7d5, v136
	v_add_f32_e32 v36, v36, v48
	v_fmamk_f32 v46, v137, 0xbf59a7d5, v43
	v_add_f32_e32 v39, v40, v52
	v_add_f32_e32 v40, v42, v44
	;; [unrolled: 1-line block ×3, first 2 shown]
	v_fmamk_f32 v44, v138, 0x3f06c442, v47
	v_mul_f32_e32 v48, 0x3f2c7751, v133
	v_fma_f32 v45, 0xbf59a7d5, v137, -v43
	v_fmac_f32_e32 v47, 0xbf06c442, v138
	v_mul_f32_e32 v49, 0x3f3d2fb0, v136
	v_add_f32_e32 v134, v134, v51
	v_add_f32_e32 v42, v46, v55
	;; [unrolled: 1-line block ×3, first 2 shown]
	v_fmamk_f32 v46, v137, 0x3f3d2fb0, v48
	v_add_f32_e32 v44, v45, v50
	v_add_f32_e32 v45, v47, v53
	v_fmamk_f32 v47, v138, 0xbf2c7751, v49
	v_mul_f32_e32 v51, 0xbf4c4adb, v133
	v_mul_f32_e32 v53, 0xbf1a4643, v136
	;; [unrolled: 1-line block ×3, first 2 shown]
	v_add_f32_e32 v46, v46, v58
	v_fma_f32 v48, 0x3f3d2fb0, v137, -v48
	v_fmac_f32_e32 v49, 0x3f2c7751, v138
	v_add_f32_e32 v47, v47, v57
	v_fmamk_f32 v52, v138, 0x3f4c4adb, v53
	v_fma_f32 v54, 0xbf1a4643, v137, -v51
	v_fmamk_f32 v57, v137, 0x3ee437d1, v55
	v_mul_f32_e32 v58, 0x3ee437d1, v136
	v_fmamk_f32 v50, v137, 0xbf1a4643, v51
	v_add_f32_e32 v48, v48, v59
	v_add_f32_e32 v49, v49, v61
	v_fmac_f32_e32 v53, 0xbf4c4adb, v138
	v_add_f32_e32 v51, v52, v129
	v_add_f32_e32 v52, v54, v56
	v_add_f32_e32 v54, v57, v128
	v_fmamk_f32 v56, v138, 0xbf65296c, v58
	v_mul_f32_e32 v59, 0xbf763a35, v133
	v_fma_f32 v57, 0x3ee437d1, v137, -v55
	v_mul_f32_e32 v61, 0xbe8c1d8e, v136
	v_add_f32_e32 v50, v50, v119
	v_add_f32_e32 v53, v53, v60
	v_fmac_f32_e32 v58, 0x3f65296c, v138
	v_add_f32_e32 v55, v56, v127
	v_fmamk_f32 v60, v137, 0xbe8c1d8e, v59
	v_add_f32_e32 v56, v57, v120
	v_fmamk_f32 v119, v138, 0x3f763a35, v61
	v_fma_f32 v120, 0xbe8c1d8e, v137, -v59
	v_mul_f32_e32 v127, 0x3f7ee86f, v133
	v_mul_f32_e32 v128, 0x3dbcf732, v136
	v_add_f32_e32 v57, v58, v131
	v_add_f32_e32 v58, v60, v135
	;; [unrolled: 1-line block ×4, first 2 shown]
	v_fmamk_f32 v62, v137, 0x3dbcf732, v127
	v_fmamk_f32 v63, v138, 0xbf7ee86f, v128
	v_fma_f32 v119, 0x3dbcf732, v137, -v127
	v_fmac_f32_e32 v128, 0x3f7ee86f, v138
	v_fmac_f32_e32 v61, 0xbf763a35, v138
	v_add_f32_e32 v62, v62, v132
	v_add_f32_e32 v63, v63, v139
	;; [unrolled: 1-line block ×5, first 2 shown]
	ds_write2_b64 v123, v[32:33], v[34:35] offset1:1
	ds_write2_b64 v123, v[38:39], v[42:43] offset0:2 offset1:3
	ds_write2_b64 v123, v[46:47], v[50:51] offset0:4 offset1:5
	;; [unrolled: 1-line block ×7, first 2 shown]
	ds_write_b64 v123, v[36:37] offset:128
	s_waitcnt lgkmcnt(0)
	s_barrier
	buffer_gl0_inv
	ds_read2_b64 v[32:35], v122 offset1:34
	ds_read2_b64 v[36:39], v122 offset0:68 offset1:102
	ds_read2_b64 v[40:43], v122 offset0:136 offset1:170
	;; [unrolled: 1-line block ×7, first 2 shown]
	ds_read_b64 v[119:120], v122 offset:4352
	s_waitcnt lgkmcnt(0)
	s_barrier
	buffer_gl0_inv
	v_mul_f32_e32 v123, v29, v35
	v_mul_f32_e32 v29, v29, v34
	v_fmac_f32_e32 v123, v28, v34
	v_mul_f32_e32 v34, v31, v37
	v_mul_f32_e32 v31, v31, v36
	v_fma_f32 v29, v28, v35, -v29
	v_mul_f32_e32 v35, v25, v39
	v_mul_f32_e32 v25, v25, v38
	;; [unrolled: 1-line block ×4, first 2 shown]
	v_fmac_f32_e32 v34, v30, v36
	v_fma_f32 v30, v30, v37, -v31
	v_fmac_f32_e32 v35, v24, v38
	v_fma_f32 v31, v24, v39, -v25
	v_fmac_f32_e32 v28, v26, v40
	v_mul_f32_e32 v24, v23, v45
	v_fma_f32 v26, v26, v41, -v27
	v_mul_f32_e32 v27, v23, v44
	v_mul_f32_e32 v25, v21, v43
	;; [unrolled: 1-line block ×3, first 2 shown]
	v_fmac_f32_e32 v24, v22, v44
	v_add_f32_e32 v36, v33, v29
	v_fma_f32 v22, v22, v45, -v27
	v_add_f32_e32 v27, v32, v123
	v_fmac_f32_e32 v25, v20, v42
	v_fma_f32 v23, v20, v43, -v21
	v_mul_f32_e32 v20, v5, v47
	v_mul_f32_e32 v5, v5, v46
	v_add_f32_e32 v27, v27, v34
	v_add_f32_e32 v36, v36, v30
	v_mul_f32_e32 v37, v9, v58
	v_fmac_f32_e32 v20, v4, v46
	v_fma_f32 v21, v4, v47, -v5
	v_add_f32_e32 v27, v27, v35
	v_mul_f32_e32 v4, v7, v49
	v_mul_f32_e32 v7, v7, v48
	v_add_f32_e32 v36, v36, v31
	v_mul_f32_e32 v5, v17, v51
	v_add_f32_e32 v27, v27, v28
	v_fmac_f32_e32 v4, v6, v48
	v_fma_f32 v6, v6, v49, -v7
	v_mul_f32_e32 v7, v17, v50
	v_add_f32_e32 v36, v36, v26
	v_mul_f32_e32 v17, v19, v53
	v_mul_f32_e32 v19, v19, v52
	v_add_f32_e32 v27, v27, v25
	v_fmac_f32_e32 v5, v16, v50
	v_fma_f32 v7, v16, v51, -v7
	v_add_f32_e32 v36, v36, v23
	v_fma_f32 v16, v18, v53, -v19
	v_add_f32_e32 v19, v27, v24
	v_fmac_f32_e32 v17, v18, v52
	v_mul_f32_e32 v18, v13, v55
	v_add_f32_e32 v27, v36, v22
	v_mul_f32_e32 v36, v13, v54
	v_add_f32_e32 v19, v19, v20
	v_mul_f32_e32 v13, v15, v57
	v_mul_f32_e32 v15, v15, v56
	v_add_f32_e32 v27, v27, v21
	v_fmac_f32_e32 v18, v12, v54
	v_add_f32_e32 v19, v19, v4
	v_fma_f32 v12, v12, v55, -v36
	v_fmac_f32_e32 v13, v14, v56
	v_add_f32_e32 v27, v27, v6
	v_mul_f32_e32 v36, v9, v59
	v_fma_f32 v9, v14, v57, -v15
	v_add_f32_e32 v14, v19, v5
	v_mul_f32_e32 v19, v11, v61
	v_add_f32_e32 v15, v27, v7
	v_fmac_f32_e32 v36, v8, v58
	v_mul_f32_e32 v11, v11, v60
	v_add_f32_e32 v14, v14, v17
	v_fma_f32 v8, v8, v59, -v37
	v_add_f32_e32 v15, v15, v16
	v_mul_f32_e32 v27, v1, v63
	v_fmac_f32_e32 v19, v10, v60
	v_add_f32_e32 v14, v14, v18
	v_fma_f32 v10, v10, v61, -v11
	v_add_f32_e32 v15, v15, v12
	v_mul_f32_e32 v11, v3, v119
	v_mul_f32_e32 v3, v3, v120
	v_add_f32_e32 v14, v14, v13
	v_mul_f32_e32 v1, v1, v62
	v_add_f32_e32 v15, v15, v9
	v_fmac_f32_e32 v27, v0, v62
	v_fma_f32 v11, v2, v120, -v11
	v_add_f32_e32 v14, v14, v36
	v_fmac_f32_e32 v3, v2, v119
	v_add_f32_e32 v15, v15, v8
	v_fma_f32 v2, v0, v63, -v1
	v_sub_f32_e32 v37, v29, v11
	v_add_f32_e32 v0, v14, v19
	v_add_f32_e32 v14, v123, v3
	;; [unrolled: 1-line block ×4, first 2 shown]
	v_mul_f32_e32 v29, 0xbeb8f4ab, v37
	v_add_f32_e32 v0, v0, v27
	v_sub_f32_e32 v38, v123, v3
	v_add_f32_e32 v1, v1, v2
	v_mul_f32_e32 v39, 0x3f6eb680, v15
	v_mul_f32_e32 v42, 0x3f3d2fb0, v15
	v_add_f32_e32 v0, v0, v3
	v_mul_f32_e32 v3, 0xbf2c7751, v37
	v_mul_f32_e32 v43, 0xbf65296c, v37
	;; [unrolled: 1-line block ×13, first 2 shown]
	v_sub_f32_e32 v120, v30, v2
	v_add_f32_e32 v2, v30, v2
	v_fmamk_f32 v40, v14, 0x3f6eb680, v29
	v_add_f32_e32 v1, v1, v11
	v_fmamk_f32 v11, v38, 0x3eb8f4ab, v39
	v_fma_f32 v29, 0x3f6eb680, v14, -v29
	v_fmac_f32_e32 v39, 0xbeb8f4ab, v38
	v_fmamk_f32 v41, v14, 0x3f3d2fb0, v3
	v_fmamk_f32 v44, v38, 0x3f2c7751, v42
	v_fma_f32 v3, 0x3f3d2fb0, v14, -v3
	v_fmac_f32_e32 v42, 0xbf2c7751, v38
	v_fmamk_f32 v46, v14, 0x3ee437d1, v43
	;; [unrolled: 4-line block ×7, first 2 shown]
	v_fmamk_f32 v123, v38, 0x3e3c28d5, v15
	v_fma_f32 v14, 0xbf7ba420, v14, -v37
	v_add_f32_e32 v30, v34, v27
	v_mul_f32_e32 v37, 0xbf2c7751, v120
	v_fmac_f32_e32 v15, 0xbe3c28d5, v38
	v_sub_f32_e32 v27, v34, v27
	v_mul_f32_e32 v34, 0x3f3d2fb0, v2
	v_add_f32_e32 v40, v32, v40
	v_add_f32_e32 v11, v33, v11
	v_add_f32_e32 v29, v32, v29
	v_add_f32_e32 v39, v33, v39
	v_add_f32_e32 v41, v32, v41
	v_add_f32_e32 v44, v33, v44
	v_add_f32_e32 v3, v32, v3
	v_add_f32_e32 v42, v33, v42
	v_add_f32_e32 v46, v32, v46
	v_add_f32_e32 v47, v33, v47
	v_add_f32_e32 v43, v32, v43
	v_add_f32_e32 v45, v33, v45
	v_add_f32_e32 v50, v32, v50
	v_add_f32_e32 v52, v33, v52
	v_add_f32_e32 v48, v32, v48
	v_add_f32_e32 v49, v33, v49
	v_add_f32_e32 v53, v32, v53
	v_add_f32_e32 v56, v33, v56
	v_add_f32_e32 v51, v32, v51
	v_add_f32_e32 v54, v33, v54
	v_add_f32_e32 v58, v32, v58
	v_add_f32_e32 v59, v33, v59
	v_add_f32_e32 v55, v32, v55
	v_add_f32_e32 v57, v33, v57
	v_add_f32_e32 v62, v32, v62
	v_add_f32_e32 v63, v33, v63
	v_add_f32_e32 v60, v32, v60
	v_add_f32_e32 v61, v33, v61
	v_add_f32_e32 v119, v32, v119
	v_add_f32_e32 v38, v33, v123
	v_fmamk_f32 v123, v30, 0x3f3d2fb0, v37
	v_add_f32_e32 v14, v32, v14
	v_add_f32_e32 v15, v33, v15
	v_fmamk_f32 v32, v27, 0x3f2c7751, v34
	v_mul_f32_e32 v33, 0xbf7ee86f, v120
	v_fma_f32 v37, 0x3f3d2fb0, v30, -v37
	v_add_f32_e32 v40, v123, v40
	v_fmac_f32_e32 v34, 0xbf2c7751, v27
	v_add_f32_e32 v11, v32, v11
	v_fmamk_f32 v32, v30, 0x3dbcf732, v33
	v_mul_f32_e32 v123, 0x3dbcf732, v2
	v_add_f32_e32 v29, v37, v29
	v_mul_f32_e32 v37, 0xbf4c4adb, v120
	v_add_f32_e32 v34, v34, v39
	v_add_f32_e32 v32, v32, v41
	v_fmamk_f32 v39, v27, 0x3f7ee86f, v123
	v_fma_f32 v33, 0x3dbcf732, v30, -v33
	v_fmac_f32_e32 v123, 0xbf7ee86f, v27
	v_fmamk_f32 v41, v30, 0xbf1a4643, v37
	v_mul_f32_e32 v127, 0xbf1a4643, v2
	v_add_f32_e32 v39, v39, v44
	v_add_f32_e32 v3, v33, v3
	;; [unrolled: 1-line block ×4, first 2 shown]
	v_fmamk_f32 v42, v27, 0x3f4c4adb, v127
	v_mul_f32_e32 v44, 0xbe3c28d5, v120
	v_fma_f32 v37, 0xbf1a4643, v30, -v37
	v_fmac_f32_e32 v127, 0xbf4c4adb, v27
	v_mul_f32_e32 v46, 0xbf7ba420, v2
	v_add_f32_e32 v42, v42, v47
	v_fmamk_f32 v47, v30, 0xbf7ba420, v44
	v_add_f32_e32 v37, v37, v43
	v_add_f32_e32 v43, v127, v45
	v_fmamk_f32 v45, v27, 0x3e3c28d5, v46
	v_mul_f32_e32 v123, 0x3f06c442, v120
	v_add_f32_e32 v47, v47, v50
	v_fma_f32 v44, 0xbf7ba420, v30, -v44
	v_fmac_f32_e32 v46, 0xbe3c28d5, v27
	v_add_f32_e32 v45, v45, v52
	v_fmamk_f32 v50, v30, 0xbf59a7d5, v123
	v_mul_f32_e32 v52, 0xbf59a7d5, v2
	v_add_f32_e32 v44, v44, v48
	v_add_f32_e32 v46, v46, v49
	v_mul_f32_e32 v48, 0x3f763a35, v120
	v_add_f32_e32 v49, v50, v53
	v_fmamk_f32 v50, v27, 0xbf06c442, v52
	v_fmac_f32_e32 v52, 0x3f06c442, v27
	v_mul_f32_e32 v127, 0xbe8c1d8e, v2
	v_fma_f32 v53, 0xbf59a7d5, v30, -v123
	v_fmamk_f32 v123, v30, 0xbe8c1d8e, v48
	v_add_f32_e32 v50, v50, v56
	v_add_f32_e32 v52, v52, v54
	v_fmamk_f32 v54, v27, 0xbf763a35, v127
	v_mul_f32_e32 v56, 0x3f65296c, v120
	v_add_f32_e32 v51, v53, v51
	v_add_f32_e32 v53, v123, v58
	v_fma_f32 v48, 0xbe8c1d8e, v30, -v48
	v_mul_f32_e32 v58, 0x3ee437d1, v2
	v_add_f32_e32 v54, v54, v59
	v_fmamk_f32 v59, v30, 0x3ee437d1, v56
	v_mul_f32_e32 v120, 0x3eb8f4ab, v120
	v_fma_f32 v56, 0x3ee437d1, v30, -v56
	v_add_f32_e32 v48, v48, v55
	v_fmamk_f32 v55, v27, 0xbf65296c, v58
	v_add_f32_e32 v59, v59, v62
	v_fmac_f32_e32 v58, 0x3f65296c, v27
	v_fmamk_f32 v62, v30, 0x3f6eb680, v120
	v_add_f32_e32 v56, v56, v60
	v_sub_f32_e32 v60, v31, v10
	v_add_f32_e32 v55, v55, v63
	v_mul_f32_e32 v2, 0x3f6eb680, v2
	v_add_f32_e32 v58, v58, v61
	v_add_f32_e32 v61, v62, v119
	;; [unrolled: 1-line block ×3, first 2 shown]
	v_mul_f32_e32 v119, 0xbf65296c, v60
	v_add_f32_e32 v10, v31, v10
	v_fmac_f32_e32 v127, 0x3f763a35, v27
	v_fmamk_f32 v62, v27, 0xbeb8f4ab, v2
	v_fma_f32 v30, 0x3f6eb680, v30, -v120
	v_fmac_f32_e32 v2, 0x3eb8f4ab, v27
	v_sub_f32_e32 v19, v35, v19
	v_fmamk_f32 v27, v63, 0x3ee437d1, v119
	v_mul_f32_e32 v31, 0x3ee437d1, v10
	v_add_f32_e32 v35, v62, v38
	v_add_f32_e32 v14, v30, v14
	;; [unrolled: 1-line block ×4, first 2 shown]
	v_fmamk_f32 v27, v19, 0x3f65296c, v31
	v_mul_f32_e32 v30, 0xbf4c4adb, v60
	v_fma_f32 v38, 0x3ee437d1, v63, -v119
	v_fmac_f32_e32 v31, 0xbf65296c, v19
	v_mul_f32_e32 v40, 0xbf1a4643, v10
	v_add_f32_e32 v11, v27, v11
	v_fmamk_f32 v27, v63, 0xbf1a4643, v30
	v_add_f32_e32 v29, v38, v29
	v_add_f32_e32 v31, v31, v34
	v_fmamk_f32 v34, v19, 0x3f4c4adb, v40
	v_mul_f32_e32 v38, 0x3e3c28d5, v60
	v_fma_f32 v30, 0xbf1a4643, v63, -v30
	v_fmac_f32_e32 v40, 0xbf4c4adb, v19
	v_add_f32_e32 v27, v27, v32
	v_add_f32_e32 v32, v34, v39
	v_fmamk_f32 v34, v63, 0xbf7ba420, v38
	v_mul_f32_e32 v39, 0xbf7ba420, v10
	v_add_f32_e32 v3, v30, v3
	v_add_f32_e32 v30, v40, v33
	v_mul_f32_e32 v33, 0x3f763a35, v60
	v_add_f32_e32 v34, v34, v41
	v_fmamk_f32 v40, v19, 0xbe3c28d5, v39
	v_fma_f32 v38, 0xbf7ba420, v63, -v38
	v_fmac_f32_e32 v39, 0x3e3c28d5, v19
	v_fmamk_f32 v41, v63, 0xbe8c1d8e, v33
	v_mul_f32_e32 v62, 0xbe8c1d8e, v10
	v_add_f32_e32 v40, v40, v42
	v_add_f32_e32 v37, v38, v37
	;; [unrolled: 1-line block ×4, first 2 shown]
	v_fmamk_f32 v41, v19, 0xbf763a35, v62
	v_mul_f32_e32 v42, 0x3f2c7751, v60
	v_fma_f32 v33, 0xbe8c1d8e, v63, -v33
	v_fmac_f32_e32 v62, 0x3f763a35, v19
	v_mul_f32_e32 v43, 0x3f3d2fb0, v10
	v_add_f32_e32 v41, v41, v45
	v_fmamk_f32 v45, v63, 0x3f3d2fb0, v42
	v_add_f32_e32 v33, v33, v44
	v_add_f32_e32 v44, v62, v46
	v_fmamk_f32 v46, v19, 0xbf2c7751, v43
	v_mul_f32_e32 v47, 0xbeb8f4ab, v60
	v_fma_f32 v42, 0x3f3d2fb0, v63, -v42
	v_add_f32_e32 v45, v45, v49
	v_fmac_f32_e32 v43, 0x3f2c7751, v19
	v_add_f32_e32 v46, v46, v50
	v_fmamk_f32 v49, v63, 0x3f6eb680, v47
	v_mul_f32_e32 v50, 0x3f6eb680, v10
	v_add_f32_e32 v42, v42, v51
	v_mul_f32_e32 v51, 0xbf7ee86f, v60
	v_add_f32_e32 v57, v127, v57
	v_add_f32_e32 v43, v43, v52
	;; [unrolled: 1-line block ×3, first 2 shown]
	v_fmamk_f32 v52, v19, 0x3eb8f4ab, v50
	v_fma_f32 v47, 0x3f6eb680, v63, -v47
	v_fmac_f32_e32 v50, 0xbeb8f4ab, v19
	v_fmamk_f32 v53, v63, 0x3dbcf732, v51
	v_mul_f32_e32 v62, 0x3dbcf732, v10
	v_mul_f32_e32 v10, 0xbf59a7d5, v10
	v_add_f32_e32 v47, v47, v48
	v_add_f32_e32 v48, v50, v57
	;; [unrolled: 1-line block ×3, first 2 shown]
	v_fmamk_f32 v53, v19, 0x3f7ee86f, v62
	v_fma_f32 v51, 0x3dbcf732, v63, -v51
	v_fmac_f32_e32 v62, 0xbf7ee86f, v19
	v_add_f32_e32 v52, v52, v54
	v_mul_f32_e32 v54, 0xbf06c442, v60
	v_fmamk_f32 v57, v19, 0x3f06c442, v10
	v_add_f32_e32 v51, v51, v56
	v_add_f32_e32 v56, v62, v58
	v_sub_f32_e32 v58, v26, v8
	v_add_f32_e32 v8, v26, v8
	v_add_f32_e32 v53, v53, v55
	v_fmamk_f32 v55, v63, 0xbf59a7d5, v54
	v_add_f32_e32 v35, v57, v35
	v_add_f32_e32 v57, v28, v36
	v_mul_f32_e32 v26, 0xbf7ee86f, v58
	v_fma_f32 v54, 0xbf59a7d5, v63, -v54
	v_fmac_f32_e32 v10, 0xbf06c442, v19
	v_sub_f32_e32 v19, v28, v36
	v_mul_f32_e32 v28, 0x3dbcf732, v8
	v_fmamk_f32 v36, v57, 0x3dbcf732, v26
	v_add_f32_e32 v14, v54, v14
	v_add_f32_e32 v2, v10, v2
	v_mul_f32_e32 v10, 0xbe3c28d5, v58
	v_fmamk_f32 v54, v19, 0x3f7ee86f, v28
	v_add_f32_e32 v15, v36, v15
	v_fma_f32 v26, 0x3dbcf732, v57, -v26
	v_fmac_f32_e32 v28, 0xbf7ee86f, v19
	v_fmamk_f32 v36, v57, 0xbf7ba420, v10
	v_add_f32_e32 v11, v54, v11
	v_mul_f32_e32 v54, 0xbf7ba420, v8
	v_add_f32_e32 v26, v26, v29
	v_add_f32_e32 v28, v28, v31
	;; [unrolled: 1-line block ×3, first 2 shown]
	v_mul_f32_e32 v29, 0x3f763a35, v58
	v_fmamk_f32 v31, v19, 0x3e3c28d5, v54
	v_fma_f32 v10, 0xbf7ba420, v57, -v10
	v_fmac_f32_e32 v54, 0xbe3c28d5, v19
	v_mul_f32_e32 v36, 0xbe8c1d8e, v8
	v_fmamk_f32 v59, v57, 0xbe8c1d8e, v29
	v_add_f32_e32 v31, v31, v32
	v_add_f32_e32 v3, v10, v3
	;; [unrolled: 1-line block ×3, first 2 shown]
	v_fmamk_f32 v30, v19, 0xbf763a35, v36
	v_add_f32_e32 v32, v59, v34
	v_mul_f32_e32 v34, 0x3eb8f4ab, v58
	v_fma_f32 v29, 0xbe8c1d8e, v57, -v29
	v_fmac_f32_e32 v36, 0x3f763a35, v19
	v_add_f32_e32 v30, v30, v40
	v_mul_f32_e32 v40, 0x3f6eb680, v8
	v_fmamk_f32 v54, v57, 0x3f6eb680, v34
	v_add_f32_e32 v29, v29, v37
	v_add_f32_e32 v36, v36, v38
	v_mul_f32_e32 v37, 0xbf65296c, v58
	v_fmamk_f32 v38, v19, 0xbeb8f4ab, v40
	v_add_f32_e32 v39, v54, v39
	v_fma_f32 v34, 0x3f6eb680, v57, -v34
	v_fmac_f32_e32 v40, 0x3eb8f4ab, v19
	v_fmamk_f32 v54, v57, 0x3ee437d1, v37
	v_add_f32_e32 v38, v38, v41
	v_mul_f32_e32 v41, 0x3ee437d1, v8
	v_add_f32_e32 v33, v34, v33
	v_add_f32_e32 v34, v40, v44
	;; [unrolled: 1-line block ×3, first 2 shown]
	v_mul_f32_e32 v44, 0xbf06c442, v58
	v_fmamk_f32 v45, v19, 0x3f65296c, v41
	v_fma_f32 v37, 0x3ee437d1, v57, -v37
	v_mul_f32_e32 v54, 0xbf59a7d5, v8
	v_fmac_f32_e32 v41, 0xbf65296c, v19
	v_fmamk_f32 v59, v57, 0xbf59a7d5, v44
	v_add_f32_e32 v45, v45, v46
	v_add_f32_e32 v37, v37, v42
	v_fmamk_f32 v42, v19, 0x3f06c442, v54
	v_mul_f32_e32 v46, 0x3f4c4adb, v58
	v_fma_f32 v44, 0xbf59a7d5, v57, -v44
	v_fmac_f32_e32 v54, 0xbf06c442, v19
	v_add_f32_e32 v55, v55, v61
	v_add_f32_e32 v42, v42, v52
	v_fmamk_f32 v52, v57, 0xbf1a4643, v46
	v_add_f32_e32 v44, v44, v47
	v_add_f32_e32 v47, v54, v48
	v_mul_f32_e32 v48, 0x3f2c7751, v58
	v_add_f32_e32 v41, v41, v43
	v_add_f32_e32 v43, v59, v49
	v_mul_f32_e32 v49, 0xbf1a4643, v8
	v_add_f32_e32 v50, v52, v50
	v_fma_f32 v46, 0xbf1a4643, v57, -v46
	v_fmamk_f32 v52, v57, 0x3f3d2fb0, v48
	v_mul_f32_e32 v8, 0x3f3d2fb0, v8
	v_fmamk_f32 v54, v19, 0xbf4c4adb, v49
	v_fmac_f32_e32 v49, 0x3f4c4adb, v19
	v_add_f32_e32 v46, v46, v51
	v_add_f32_e32 v51, v52, v55
	v_sub_f32_e32 v52, v23, v9
	v_add_f32_e32 v9, v23, v9
	v_add_f32_e32 v53, v54, v53
	v_fmamk_f32 v54, v19, 0xbf2c7751, v8
	v_fma_f32 v48, 0x3f3d2fb0, v57, -v48
	v_add_f32_e32 v23, v25, v13
	v_mul_f32_e32 v55, 0xbf763a35, v52
	v_fmac_f32_e32 v8, 0x3f2c7751, v19
	v_sub_f32_e32 v13, v25, v13
	v_mul_f32_e32 v19, 0xbe8c1d8e, v9
	v_add_f32_e32 v25, v54, v35
	v_fmamk_f32 v35, v23, 0xbe8c1d8e, v55
	v_add_f32_e32 v14, v48, v14
	v_add_f32_e32 v2, v8, v2
	v_fmamk_f32 v8, v13, 0x3f763a35, v19
	v_mul_f32_e32 v48, 0x3f06c442, v52
	v_fmac_f32_e32 v19, 0xbf763a35, v13
	v_add_f32_e32 v15, v35, v15
	v_fma_f32 v35, 0xbe8c1d8e, v23, -v55
	v_add_f32_e32 v8, v8, v11
	v_fmamk_f32 v11, v23, 0xbf59a7d5, v48
	v_mul_f32_e32 v54, 0xbf59a7d5, v9
	v_add_f32_e32 v19, v19, v28
	v_mul_f32_e32 v28, 0x3f2c7751, v52
	v_add_f32_e32 v26, v35, v26
	v_add_f32_e32 v11, v11, v27
	v_fmamk_f32 v27, v13, 0xbf06c442, v54
	v_fma_f32 v35, 0xbf59a7d5, v23, -v48
	v_fmamk_f32 v48, v23, 0x3f3d2fb0, v28
	v_mul_f32_e32 v55, 0x3f3d2fb0, v9
	v_fmac_f32_e32 v54, 0x3f06c442, v13
	v_add_f32_e32 v27, v27, v31
	v_add_f32_e32 v3, v35, v3
	;; [unrolled: 1-line block ×3, first 2 shown]
	v_fmamk_f32 v32, v13, 0xbf2c7751, v55
	v_mul_f32_e32 v35, 0xbf65296c, v52
	v_fma_f32 v28, 0x3f3d2fb0, v23, -v28
	v_fmac_f32_e32 v55, 0x3f2c7751, v13
	v_mul_f32_e32 v48, 0x3ee437d1, v9
	v_add_f32_e32 v10, v54, v10
	v_add_f32_e32 v30, v32, v30
	v_fmamk_f32 v32, v23, 0x3ee437d1, v35
	v_add_f32_e32 v28, v28, v29
	v_add_f32_e32 v29, v55, v36
	v_fmamk_f32 v36, v13, 0x3f65296c, v48
	v_mul_f32_e32 v54, 0xbe3c28d5, v52
	v_fma_f32 v35, 0x3ee437d1, v23, -v35
	v_add_f32_e32 v32, v32, v39
	v_fmac_f32_e32 v48, 0xbf65296c, v13
	v_add_f32_e32 v36, v36, v38
	v_fmamk_f32 v38, v23, 0xbf7ba420, v54
	v_mul_f32_e32 v39, 0xbf7ba420, v9
	v_add_f32_e32 v33, v35, v33
	v_mul_f32_e32 v35, 0x3f7ee86f, v52
	v_add_f32_e32 v34, v48, v34
	v_add_f32_e32 v38, v38, v40
	v_fmamk_f32 v40, v13, 0x3e3c28d5, v39
	v_fma_f32 v48, 0xbf7ba420, v23, -v54
	v_fmac_f32_e32 v39, 0xbe3c28d5, v13
	v_fmamk_f32 v54, v23, 0x3dbcf732, v35
	v_mul_f32_e32 v55, 0x3dbcf732, v9
	v_add_f32_e32 v40, v40, v45
	v_mul_f32_e32 v45, 0xbeb8f4ab, v52
	v_add_f32_e32 v39, v39, v41
	v_add_f32_e32 v41, v54, v43
	v_fmamk_f32 v43, v13, 0xbf7ee86f, v55
	v_add_f32_e32 v37, v48, v37
	v_fma_f32 v35, 0x3dbcf732, v23, -v35
	v_mul_f32_e32 v48, 0x3f6eb680, v9
	v_mul_f32_e32 v52, 0xbf4c4adb, v52
	v_add_f32_e32 v42, v43, v42
	v_fmamk_f32 v43, v23, 0x3f6eb680, v45
	v_fma_f32 v45, 0x3f6eb680, v23, -v45
	v_add_f32_e32 v49, v49, v56
	v_add_f32_e32 v35, v35, v44
	v_fmamk_f32 v44, v13, 0x3eb8f4ab, v48
	v_add_f32_e32 v43, v43, v50
	v_fmac_f32_e32 v48, 0xbeb8f4ab, v13
	v_fmamk_f32 v50, v23, 0xbf1a4643, v52
	v_add_f32_e32 v45, v45, v46
	v_sub_f32_e32 v46, v22, v12
	v_add_f32_e32 v44, v44, v53
	v_mul_f32_e32 v9, 0xbf1a4643, v9
	v_add_f32_e32 v48, v48, v49
	v_add_f32_e32 v49, v50, v51
	v_add_f32_e32 v51, v24, v18
	v_mul_f32_e32 v53, 0xbf4c4adb, v46
	v_add_f32_e32 v12, v22, v12
	v_fmac_f32_e32 v55, 0x3f7ee86f, v13
	v_fmamk_f32 v50, v13, 0x3f4c4adb, v9
	v_fma_f32 v22, 0xbf1a4643, v23, -v52
	v_fmac_f32_e32 v9, 0xbf4c4adb, v13
	v_sub_f32_e32 v13, v24, v18
	v_fmamk_f32 v18, v51, 0xbf1a4643, v53
	v_mul_f32_e32 v23, 0xbf1a4643, v12
	v_add_f32_e32 v24, v50, v25
	v_add_f32_e32 v2, v9, v2
	;; [unrolled: 1-line block ×4, first 2 shown]
	v_fmamk_f32 v15, v13, 0x3f4c4adb, v23
	v_mul_f32_e32 v18, 0x3f763a35, v46
	v_fma_f32 v22, 0xbf1a4643, v51, -v53
	v_fmac_f32_e32 v23, 0xbf4c4adb, v13
	v_mul_f32_e32 v25, 0xbe8c1d8e, v12
	v_add_f32_e32 v8, v15, v8
	v_fmamk_f32 v15, v51, 0xbe8c1d8e, v18
	v_add_f32_e32 v22, v22, v26
	v_add_f32_e32 v19, v23, v19
	v_fmamk_f32 v23, v13, 0xbf763a35, v25
	v_mul_f32_e32 v26, 0xbeb8f4ab, v46
	v_add_f32_e32 v11, v15, v11
	v_fma_f32 v15, 0xbe8c1d8e, v51, -v18
	v_fmac_f32_e32 v25, 0x3f763a35, v13
	v_add_f32_e32 v18, v23, v27
	v_fmamk_f32 v23, v51, 0x3f6eb680, v26
	v_mul_f32_e32 v27, 0x3f6eb680, v12
	v_add_f32_e32 v3, v15, v3
	v_mul_f32_e32 v15, 0xbf06c442, v46
	v_add_f32_e32 v10, v25, v10
	v_add_f32_e32 v23, v23, v31
	v_fmamk_f32 v25, v13, 0x3eb8f4ab, v27
	v_fma_f32 v26, 0x3f6eb680, v51, -v26
	v_fmac_f32_e32 v27, 0xbeb8f4ab, v13
	v_fmamk_f32 v31, v51, 0xbf59a7d5, v15
	v_mul_f32_e32 v50, 0xbf59a7d5, v12
	v_add_f32_e32 v25, v25, v30
	v_add_f32_e32 v26, v26, v28
	;; [unrolled: 1-line block ×4, first 2 shown]
	v_fmamk_f32 v29, v13, 0x3f06c442, v50
	v_mul_f32_e32 v30, 0x3f7ee86f, v46
	v_fma_f32 v15, 0xbf59a7d5, v51, -v15
	v_fmac_f32_e32 v50, 0xbf06c442, v13
	v_mul_f32_e32 v31, 0x3dbcf732, v12
	v_add_f32_e32 v29, v29, v36
	v_fmamk_f32 v32, v51, 0x3dbcf732, v30
	v_add_f32_e32 v15, v15, v33
	v_add_f32_e32 v33, v50, v34
	v_fmamk_f32 v34, v13, 0xbf7ee86f, v31
	v_mul_f32_e32 v36, 0xbf2c7751, v46
	v_fma_f32 v30, 0x3dbcf732, v51, -v30
	v_add_f32_e32 v32, v32, v38
	v_fmac_f32_e32 v31, 0x3f7ee86f, v13
	v_add_f32_e32 v34, v34, v40
	v_fmamk_f32 v38, v51, 0x3f3d2fb0, v36
	v_mul_f32_e32 v40, 0x3f3d2fb0, v12
	v_add_f32_e32 v30, v30, v37
	v_mul_f32_e32 v37, 0xbe3c28d5, v46
	v_add_f32_e32 v47, v55, v47
	v_add_f32_e32 v31, v31, v39
	;; [unrolled: 1-line block ×3, first 2 shown]
	v_fmamk_f32 v39, v13, 0x3f2c7751, v40
	v_fma_f32 v36, 0x3f3d2fb0, v51, -v36
	v_fmac_f32_e32 v40, 0xbf2c7751, v13
	v_fmamk_f32 v41, v51, 0xbf7ba420, v37
	v_mul_f32_e32 v50, 0xbf7ba420, v12
	v_mul_f32_e32 v12, 0x3ee437d1, v12
	v_add_f32_e32 v35, v36, v35
	v_add_f32_e32 v36, v40, v47
	;; [unrolled: 1-line block ×3, first 2 shown]
	v_fmamk_f32 v41, v13, 0x3e3c28d5, v50
	v_add_f32_e32 v39, v39, v42
	v_mul_f32_e32 v42, 0x3f65296c, v46
	v_sub_f32_e32 v46, v21, v16
	v_add_f32_e32 v16, v21, v16
	v_add_f32_e32 v41, v41, v44
	v_fmamk_f32 v44, v13, 0xbf65296c, v12
	v_fmac_f32_e32 v50, 0xbe3c28d5, v13
	v_mul_f32_e32 v21, 0xbf06c442, v46
	v_fmamk_f32 v43, v51, 0x3ee437d1, v42
	v_fma_f32 v42, 0x3ee437d1, v51, -v42
	v_add_f32_e32 v24, v44, v24
	v_add_f32_e32 v44, v20, v17
	v_fmac_f32_e32 v12, 0x3f65296c, v13
	v_sub_f32_e32 v13, v20, v17
	v_mul_f32_e32 v17, 0xbf59a7d5, v16
	v_add_f32_e32 v14, v42, v14
	v_fmamk_f32 v20, v44, 0xbf59a7d5, v21
	v_add_f32_e32 v2, v12, v2
	v_mul_f32_e32 v12, 0x3f65296c, v46
	v_fmamk_f32 v42, v13, 0x3f06c442, v17
	v_fmac_f32_e32 v17, 0xbf06c442, v13
	v_add_f32_e32 v9, v20, v9
	v_fma_f32 v20, 0xbf59a7d5, v44, -v21
	v_fmamk_f32 v21, v44, 0x3ee437d1, v12
	v_add_f32_e32 v8, v42, v8
	v_mul_f32_e32 v42, 0x3ee437d1, v16
	v_add_f32_e32 v17, v17, v19
	v_add_f32_e32 v20, v20, v22
	v_mul_f32_e32 v19, 0xbf7ee86f, v46
	v_fma_f32 v12, 0x3ee437d1, v44, -v12
	v_mul_f32_e32 v22, 0x3dbcf732, v16
	v_add_f32_e32 v11, v21, v11
	v_fmamk_f32 v21, v13, 0xbf65296c, v42
	v_fmamk_f32 v47, v44, 0x3dbcf732, v19
	v_add_f32_e32 v12, v12, v3
	v_fmamk_f32 v3, v13, 0x3f7ee86f, v22
	v_fmac_f32_e32 v42, 0x3f65296c, v13
	v_add_f32_e32 v18, v21, v18
	v_add_f32_e32 v21, v47, v23
	v_mul_f32_e32 v23, 0x3f4c4adb, v46
	v_fma_f32 v19, 0x3dbcf732, v44, -v19
	v_fmac_f32_e32 v22, 0xbf7ee86f, v13
	v_add_f32_e32 v25, v3, v25
	v_mul_f32_e32 v3, 0xbf1a4643, v16
	v_add_f32_e32 v10, v42, v10
	v_fmamk_f32 v42, v44, 0xbf1a4643, v23
	v_add_f32_e32 v19, v19, v26
	v_add_f32_e32 v22, v22, v27
	v_mul_f32_e32 v26, 0xbeb8f4ab, v46
	v_fmamk_f32 v27, v13, 0xbf4c4adb, v3
	v_add_f32_e32 v28, v42, v28
	v_fma_f32 v23, 0xbf1a4643, v44, -v23
	v_fmac_f32_e32 v3, 0x3f4c4adb, v13
	v_fmamk_f32 v42, v44, 0x3f6eb680, v26
	v_add_f32_e32 v27, v27, v29
	v_mul_f32_e32 v29, 0x3f6eb680, v16
	v_add_f32_e32 v15, v23, v15
	v_add_f32_e32 v23, v3, v33
	;; [unrolled: 1-line block ×3, first 2 shown]
	v_mul_f32_e32 v3, 0xbe3c28d5, v46
	v_fmamk_f32 v32, v13, 0x3eb8f4ab, v29
	v_fma_f32 v26, 0x3f6eb680, v44, -v26
	v_mul_f32_e32 v33, 0xbf7ba420, v16
	v_fmac_f32_e32 v29, 0xbeb8f4ab, v13
	v_fmamk_f32 v47, v44, 0xbf7ba420, v3
	v_add_f32_e32 v34, v32, v34
	v_add_f32_e32 v26, v26, v30
	v_fmamk_f32 v30, v13, 0x3e3c28d5, v33
	v_mul_f32_e32 v32, 0x3f2c7751, v46
	v_fma_f32 v3, 0xbf7ba420, v44, -v3
	v_fma_f32 v37, 0xbf7ba420, v51, -v37
	v_add_f32_e32 v43, v43, v49
	v_add_f32_e32 v30, v30, v39
	v_fmamk_f32 v39, v44, 0x3f3d2fb0, v32
	v_add_f32_e32 v35, v3, v35
	v_mul_f32_e32 v3, 0xbf763a35, v46
	v_add_f32_e32 v29, v29, v31
	v_add_f32_e32 v31, v47, v38
	v_fmac_f32_e32 v33, 0xbe3c28d5, v13
	v_mul_f32_e32 v38, 0x3f3d2fb0, v16
	v_add_f32_e32 v39, v39, v40
	v_fmamk_f32 v40, v44, 0xbe8c1d8e, v3
	v_add_f32_e32 v37, v37, v45
	v_add_f32_e32 v45, v50, v48
	;; [unrolled: 1-line block ×3, first 2 shown]
	v_fmamk_f32 v33, v13, 0xbf2c7751, v38
	v_fma_f32 v32, 0x3f3d2fb0, v44, -v32
	v_fmac_f32_e32 v38, 0x3f2c7751, v13
	v_add_f32_e32 v40, v40, v43
	v_sub_f32_e32 v43, v6, v7
	v_fma_f32 v3, 0xbe8c1d8e, v44, -v3
	v_add_f32_e32 v44, v6, v7
	v_mul_f32_e32 v16, 0xbe8c1d8e, v16
	v_add_f32_e32 v38, v38, v45
	v_add_f32_e32 v45, v4, v5
	v_mul_f32_e32 v6, 0xbe3c28d5, v43
	v_sub_f32_e32 v46, v4, v5
	v_mul_f32_e32 v4, 0xbf7ba420, v44
	v_add_f32_e32 v37, v32, v37
	v_fmamk_f32 v32, v13, 0x3f763a35, v16
	v_fmac_f32_e32 v16, 0xbf763a35, v13
	v_fmamk_f32 v5, v45, 0xbf7ba420, v6
	v_add_f32_e32 v48, v3, v14
	v_fmamk_f32 v3, v46, 0x3e3c28d5, v4
	v_mul_f32_e32 v7, 0x3eb8f4ab, v43
	v_add_f32_e32 v49, v16, v2
	v_add_f32_e32 v2, v5, v9
	v_fma_f32 v5, 0xbf7ba420, v45, -v6
	v_fmac_f32_e32 v4, 0xbe3c28d5, v46
	v_add_f32_e32 v3, v3, v8
	v_fmamk_f32 v6, v45, 0x3f6eb680, v7
	v_mul_f32_e32 v8, 0x3f6eb680, v44
	v_mul_f32_e32 v9, 0xbf06c442, v43
	v_add_f32_e32 v41, v33, v41
	v_add_f32_e32 v47, v32, v24
	;; [unrolled: 1-line block ×5, first 2 shown]
	v_fmamk_f32 v5, v46, 0xbeb8f4ab, v8
	v_fmac_f32_e32 v8, 0x3eb8f4ab, v46
	v_fmamk_f32 v11, v45, 0xbf59a7d5, v9
	v_mul_f32_e32 v13, 0xbf59a7d5, v44
	v_fma_f32 v6, 0x3f6eb680, v45, -v7
	v_mul_f32_e32 v14, 0x3f2c7751, v43
	v_add_f32_e32 v7, v8, v10
	v_add_f32_e32 v8, v11, v21
	v_fmamk_f32 v10, v46, 0x3f06c442, v13
	v_fma_f32 v11, 0xbf59a7d5, v45, -v9
	v_fmac_f32_e32 v13, 0xbf06c442, v46
	v_mul_f32_e32 v16, 0x3f3d2fb0, v44
	v_mul_f32_e32 v17, 0xbf4c4adb, v43
	v_add_f32_e32 v5, v5, v18
	v_add_f32_e32 v6, v6, v12
	;; [unrolled: 1-line block ×3, first 2 shown]
	v_fmamk_f32 v12, v45, 0x3f3d2fb0, v14
	v_add_f32_e32 v10, v11, v19
	v_add_f32_e32 v11, v13, v22
	v_fmamk_f32 v13, v46, 0xbf2c7751, v16
	v_fma_f32 v14, 0x3f3d2fb0, v45, -v14
	v_fmac_f32_e32 v16, 0x3f2c7751, v46
	v_fmamk_f32 v18, v45, 0xbf1a4643, v17
	v_mul_f32_e32 v19, 0xbf1a4643, v44
	v_mul_f32_e32 v21, 0x3f65296c, v43
	v_add_f32_e32 v14, v14, v15
	v_add_f32_e32 v15, v16, v23
	;; [unrolled: 1-line block ×3, first 2 shown]
	v_fmamk_f32 v18, v46, 0x3f4c4adb, v19
	v_fma_f32 v20, 0xbf1a4643, v45, -v17
	v_fmamk_f32 v22, v45, 0x3ee437d1, v21
	v_mul_f32_e32 v23, 0x3ee437d1, v44
	v_fmac_f32_e32 v19, 0xbf4c4adb, v46
	v_mul_f32_e32 v24, 0xbf763a35, v43
	v_add_f32_e32 v13, v13, v27
	v_add_f32_e32 v17, v18, v34
	;; [unrolled: 1-line block ×4, first 2 shown]
	v_fmamk_f32 v22, v46, 0xbf65296c, v23
	v_fma_f32 v25, 0x3ee437d1, v45, -v21
	v_mul_f32_e32 v27, 0xbe8c1d8e, v44
	v_add_f32_e32 v12, v12, v28
	v_add_f32_e32 v19, v19, v29
	v_fmamk_f32 v26, v45, 0xbe8c1d8e, v24
	v_fma_f32 v28, 0xbe8c1d8e, v45, -v24
	v_mul_f32_e32 v29, 0x3f7ee86f, v43
	v_mul_f32_e32 v31, 0x3dbcf732, v44
	v_add_f32_e32 v21, v22, v30
	v_add_f32_e32 v22, v25, v35
	v_fmamk_f32 v25, v46, 0x3f763a35, v27
	v_add_f32_e32 v24, v26, v39
	v_add_f32_e32 v26, v28, v37
	v_fmamk_f32 v28, v45, 0x3dbcf732, v29
	v_fmamk_f32 v30, v46, 0xbf7ee86f, v31
	v_fma_f32 v34, 0x3dbcf732, v45, -v29
	v_fmac_f32_e32 v31, 0x3f7ee86f, v46
	v_fmac_f32_e32 v23, 0x3f65296c, v46
	;; [unrolled: 1-line block ×3, first 2 shown]
	v_add_f32_e32 v25, v25, v41
	v_add_f32_e32 v28, v28, v40
	;; [unrolled: 1-line block ×7, first 2 shown]
	ds_write2_b64 v124, v[0:1], v[2:3] offset1:17
	ds_write2_b64 v124, v[4:5], v[8:9] offset0:34 offset1:51
	ds_write2_b64 v124, v[12:13], v[16:17] offset0:68 offset1:85
	;; [unrolled: 1-line block ×7, first 2 shown]
	ds_write_b64 v124, v[32:33] offset:2176
	v_add_nc_u32_e32 v16, 0xc00, v122
	s_waitcnt lgkmcnt(0)
	s_barrier
	buffer_gl0_inv
	ds_read2_b64 v[12:15], v122 offset1:34
	ds_read2_b64 v[24:27], v126 offset0:33 offset1:67
	ds_read2_b64 v[0:3], v122 offset0:68 offset1:102
	;; [unrolled: 1-line block ×7, first 2 shown]
	v_add_nc_u32_e32 v35, 0x660, v122
	v_add_nc_u32_e32 v34, 0x770, v122
	s_and_saveexec_b32 s0, vcc_lo
	s_cbranch_execz .LBB0_7
; %bb.6:
	ds_read_b64 v[32:33], v122 offset:2176
	ds_read_b64 v[107:108], v122 offset:4488
.LBB0_7:
	s_or_b32 exec_lo, exec_lo, s0
	s_waitcnt lgkmcnt(6)
	v_mul_f32_e32 v36, v102, v25
	v_mul_f32_e32 v37, v102, v24
	;; [unrolled: 1-line block ×4, first 2 shown]
	s_waitcnt lgkmcnt(0)
	v_mul_f32_e32 v40, v104, v17
	v_fmac_f32_e32 v36, v101, v24
	v_fma_f32 v24, v101, v25, -v37
	v_mul_f32_e32 v25, v116, v29
	v_mul_f32_e32 v37, v116, v28
	v_fmac_f32_e32 v38, v117, v26
	v_mul_f32_e32 v26, v114, v31
	v_fma_f32 v27, v117, v27, -v39
	v_fmac_f32_e32 v25, v115, v28
	v_fma_f32 v28, v115, v29, -v37
	v_mul_f32_e32 v29, v114, v30
	v_fmac_f32_e32 v26, v113, v30
	v_mul_f32_e32 v30, v112, v21
	v_mul_f32_e32 v37, v112, v20
	v_mul_f32_e32 v39, v110, v23
	v_fma_f32 v29, v113, v31, -v29
	v_mul_f32_e32 v31, v110, v22
	v_fmac_f32_e32 v30, v111, v20
	v_fma_f32 v37, v111, v21, -v37
	v_mul_f32_e32 v20, v104, v16
	v_mul_f32_e32 v41, v106, v19
	;; [unrolled: 1-line block ×3, first 2 shown]
	v_fmac_f32_e32 v39, v109, v22
	v_fma_f32 v31, v109, v23, -v31
	v_fmac_f32_e32 v40, v103, v16
	v_sub_f32_e32 v16, v12, v36
	v_fma_f32 v36, v103, v17, -v20
	v_fmac_f32_e32 v41, v105, v18
	v_fma_f32 v42, v105, v19, -v21
	v_sub_f32_e32 v17, v13, v24
	v_sub_f32_e32 v18, v14, v38
	;; [unrolled: 1-line block ×5, first 2 shown]
	v_fma_f32 v12, v12, 2.0, -v16
	v_fma_f32 v13, v13, 2.0, -v17
	v_sub_f32_e32 v22, v2, v26
	v_sub_f32_e32 v23, v3, v29
	;; [unrolled: 1-line block ×10, first 2 shown]
	v_fma_f32 v14, v14, 2.0, -v18
	v_fma_f32 v15, v15, 2.0, -v19
	;; [unrolled: 1-line block ×14, first 2 shown]
	ds_write_b64 v122, v[12:13]
	ds_write_b64 v125, v[16:17] offset:2312
	ds_write_b64 v122, v[14:15] offset:272
	;; [unrolled: 1-line block ×12, first 2 shown]
	ds_write2_b64 v122, v[4:5], v[6:7] offset0:204 offset1:238
	ds_write_b64 v34, v[30:31] offset:2312
	s_and_saveexec_b32 s0, vcc_lo
	s_cbranch_execz .LBB0_9
; %bb.8:
	v_mul_f32_e32 v0, v100, v107
	v_mul_f32_e32 v2, v100, v108
	v_fma_f32 v0, v99, v108, -v0
	v_fmac_f32_e32 v2, v99, v107
	v_sub_f32_e32 v1, v33, v0
	v_sub_f32_e32 v0, v32, v2
	v_fma_f32 v3, v33, 2.0, -v1
	v_fma_f32 v2, v32, 2.0, -v0
	ds_write_b64 v122, v[2:3] offset:2176
	ds_write_b64 v125, v[0:1] offset:4488
.LBB0_9:
	s_or_b32 exec_lo, exec_lo, s0
	s_waitcnt lgkmcnt(0)
	s_barrier
	buffer_gl0_inv
	ds_read2_b64 v[0:3], v122 offset1:34
	ds_read2_b64 v[4:7], v122 offset0:68 offset1:102
	ds_read2_b64 v[8:11], v122 offset0:136 offset1:170
	v_mad_u64_u32 v[22:23], null, s8, v121, 0
	v_mad_u64_u32 v[20:21], null, s10, v64, 0
	s_mov_b32 s0, 0xd10d4986
	ds_read2_b64 v[12:15], v122 offset0:204 offset1:238
	s_mov_b32 s1, 0x3f5c5894
	v_add_nc_u32_e32 v38, 0x800, v122
	s_mul_i32 s5, s9, 0x110
	s_mul_hi_u32 s6, s8, 0x110
	s_mul_i32 s4, s8, 0x110
	s_add_i32 s5, s6, s5
	s_waitcnt lgkmcnt(2)
	v_mul_f32_e32 v30, v82, v5
	v_mul_f32_e32 v24, v76, v1
	;; [unrolled: 1-line block ×5, first 2 shown]
	v_fmac_f32_e32 v30, v81, v4
	v_fmac_f32_e32 v24, v75, v0
	v_fma_f32 v25, v75, v1, -v16
	v_mov_b32_e32 v1, v23
	v_mov_b32_e32 v0, v21
	v_mul_f32_e32 v21, v78, v2
	v_cvt_f64_f32_e32 v[23:24], v24
	v_cvt_f64_f32_e32 v[25:26], v25
	s_waitcnt lgkmcnt(1)
	v_mul_f32_e32 v33, v88, v9
	v_mad_u64_u32 v[27:28], null, s11, v64, v[0:1]
	v_mad_u64_u32 v[0:1], null, s9, v121, v[1:2]
	v_mul_f32_e32 v1, v78, v3
	v_mul_f32_e32 v28, v82, v4
	;; [unrolled: 1-line block ×3, first 2 shown]
	v_fma_f32 v3, v77, v3, -v21
	v_fmac_f32_e32 v31, v83, v6
	v_fmac_f32_e32 v1, v77, v2
	v_fma_f32 v35, v81, v5, -v28
	v_cvt_f64_f32_e32 v[5:6], v30
	v_fma_f32 v30, v83, v7, -v32
	v_fmac_f32_e32 v33, v87, v8
	v_fma_f32 v9, v87, v9, -v34
	v_cvt_f64_f32_e32 v[1:2], v1
	v_cvt_f64_f32_e32 v[3:4], v3
	v_mov_b32_e32 v21, v27
	v_cvt_f64_f32_e32 v[7:8], v31
	v_mul_f64 v[28:29], v[23:24], s[0:1]
	v_mul_f64 v[24:25], v[25:26], s[0:1]
	v_cvt_f64_f32_e32 v[26:27], v35
	v_cvt_f64_f32_e32 v[30:31], v30
	;; [unrolled: 1-line block ×4, first 2 shown]
	v_mul_f32_e32 v36, v90, v11
	v_mul_f32_e32 v37, v90, v10
	s_waitcnt lgkmcnt(0)
	v_mul_f32_e32 v39, v92, v13
	v_mov_b32_e32 v23, v0
	v_mul_f32_e32 v40, v92, v12
	v_fmac_f32_e32 v36, v89, v10
	v_fma_f32 v37, v89, v11, -v37
	v_lshlrev_b64 v[9:10], 3, v[20:21]
	v_fmac_f32_e32 v39, v91, v12
	v_lshlrev_b64 v[20:21], 3, v[22:23]
	v_cvt_f64_f32_e32 v[22:23], v36
	ds_read2_b64 v[16:19], v38 offset0:16 offset1:50
	v_mul_f64 v[0:1], v[1:2], s[0:1]
	v_mul_f64 v[2:3], v[3:4], s[0:1]
	;; [unrolled: 1-line block ×3, first 2 shown]
	v_add_co_u32 v36, vcc_lo, s2, v9
	v_cvt_f32_f64_e32 v11, v[28:29]
	v_cvt_f32_f64_e32 v12, v[24:25]
	v_cvt_f64_f32_e32 v[24:25], v37
	v_mul_f64 v[26:27], v[26:27], s[0:1]
	v_mul_f64 v[6:7], v[7:8], s[0:1]
	v_mul_f64 v[8:9], v[30:31], s[0:1]
	v_mul_f64 v[28:29], v[32:33], s[0:1]
	v_mul_f64 v[30:31], v[34:35], s[0:1]
	v_fma_f32 v13, v91, v13, -v40
	v_add_co_ci_u32_e32 v10, vcc_lo, s3, v10, vcc_lo
	v_cvt_f64_f32_e32 v[32:33], v39
	v_add_co_u32 v20, vcc_lo, v36, v20
	v_add_co_ci_u32_e32 v21, vcc_lo, v10, v21, vcc_lo
	v_cvt_f64_f32_e32 v[34:35], v13
	v_add_co_u32 v10, vcc_lo, v20, s4
	v_cvt_f32_f64_e32 v36, v[0:1]
	v_mul_f32_e32 v0, v86, v15
	v_cvt_f32_f64_e32 v37, v[2:3]
	v_cvt_f32_f64_e32 v4, v[4:5]
	global_store_dwordx2 v[20:21], v[11:12], off
	v_add_co_ci_u32_e32 v11, vcc_lo, s5, v21, vcc_lo
	v_mul_f64 v[20:21], v[22:23], s[0:1]
	v_mul_f64 v[22:23], v[24:25], s[0:1]
	v_cvt_f32_f64_e32 v5, v[26:27]
	v_cvt_f32_f64_e32 v6, v[6:7]
	;; [unrolled: 1-line block ×5, first 2 shown]
	v_mul_f32_e32 v1, v86, v14
	v_fmac_f32_e32 v0, v85, v14
	s_waitcnt lgkmcnt(0)
	v_mul_f32_e32 v2, v98, v17
	v_mul_f32_e32 v3, v98, v16
	v_add_co_u32 v12, vcc_lo, v10, s4
	v_fma_f32 v1, v85, v15, -v1
	v_cvt_f64_f32_e32 v[26:27], v0
	v_fmac_f32_e32 v2, v97, v16
	v_fma_f32 v0, v97, v17, -v3
	v_add_co_ci_u32_e32 v13, vcc_lo, s5, v11, vcc_lo
	v_mul_f64 v[24:25], v[32:33], s[0:1]
	v_add_co_u32 v16, vcc_lo, v12, s4
	v_cvt_f64_f32_e32 v[28:29], v1
	v_cvt_f64_f32_e32 v[30:31], v2
	;; [unrolled: 1-line block ×3, first 2 shown]
	ds_read2_b64 v[0:3], v38 offset0:84 offset1:118
	v_add_co_ci_u32_e32 v17, vcc_lo, s5, v13, vcc_lo
	v_mul_f64 v[14:15], v[34:35], s[0:1]
	v_add_co_u32 v34, vcc_lo, v16, s4
	v_add_co_ci_u32_e32 v35, vcc_lo, s5, v17, vcc_lo
	global_store_dwordx2 v[10:11], v[36:37], off
	global_store_dwordx2 v[12:13], v[4:5], off
	global_store_dwordx2 v[16:17], v[6:7], off
	global_store_dwordx2 v[34:35], v[8:9], off
	v_cvt_f32_f64_e32 v4, v[20:21]
	v_cvt_f32_f64_e32 v5, v[22:23]
	v_mul_f32_e32 v22, v96, v19
	v_mul_f64 v[8:9], v[26:27], s[0:1]
	v_add_co_u32 v12, vcc_lo, v34, s4
	v_add_co_ci_u32_e32 v13, vcc_lo, s5, v35, vcc_lo
	v_cvt_f32_f64_e32 v6, v[24:25]
	v_fmac_f32_e32 v22, v95, v18
	v_mul_f32_e32 v18, v96, v18
	s_waitcnt lgkmcnt(0)
	v_mul_f32_e32 v23, v94, v1
	v_mul_f32_e32 v24, v94, v0
	v_mul_f64 v[10:11], v[28:29], s[0:1]
	v_add_co_u32 v20, vcc_lo, v12, s4
	v_cvt_f32_f64_e32 v7, v[14:15]
	v_fma_f32 v25, v95, v19, -v18
	v_cvt_f64_f32_e32 v[18:19], v22
	v_fmac_f32_e32 v23, v93, v0
	v_fma_f32 v22, v93, v1, -v24
	v_add_co_ci_u32_e32 v21, vcc_lo, s5, v13, vcc_lo
	global_store_dwordx2 v[12:13], v[4:5], off
	v_cvt_f64_f32_e32 v[12:13], v23
	v_cvt_f64_f32_e32 v[22:23], v22
	v_mul_f32_e32 v26, v80, v3
	v_cvt_f64_f32_e32 v[0:1], v25
	v_cvt_f32_f64_e32 v24, v[8:9]
	v_mul_f32_e32 v27, v80, v2
	v_mul_f64 v[14:15], v[30:31], s[0:1]
	v_fmac_f32_e32 v26, v79, v2
	v_mul_f64 v[16:17], v[32:33], s[0:1]
	v_fma_f32 v28, v79, v3, -v27
	v_cvt_f32_f64_e32 v25, v[10:11]
	ds_read2_b64 v[8:11], v38 offset0:220 offset1:254
	global_store_dwordx2 v[20:21], v[6:7], off
	ds_read2_b64 v[4:7], v38 offset0:152 offset1:186
	v_mul_f64 v[18:19], v[18:19], s[0:1]
	v_cvt_f64_f32_e32 v[28:29], v28
	v_add_co_u32 v20, vcc_lo, v20, s4
	v_add_co_ci_u32_e32 v21, vcc_lo, s5, v21, vcc_lo
	v_mul_f64 v[2:3], v[12:13], s[0:1]
	v_mul_f64 v[12:13], v[22:23], s[0:1]
	v_cvt_f64_f32_e32 v[22:23], v26
	ds_read_b64 v[26:27], v122 offset:4352
	v_mul_f64 v[0:1], v[0:1], s[0:1]
	v_cvt_f32_f64_e32 v14, v[14:15]
	v_cvt_f32_f64_e32 v15, v[16:17]
	v_add_co_u32 v16, vcc_lo, v20, s4
	s_waitcnt lgkmcnt(2)
	v_mul_f32_e32 v34, v66, v9
	v_mul_f32_e32 v36, v72, v11
	s_waitcnt lgkmcnt(1)
	v_mul_f32_e32 v30, v70, v5
	v_mul_f32_e32 v31, v70, v4
	;; [unrolled: 1-line block ×4, first 2 shown]
	v_fmac_f32_e32 v34, v65, v8
	v_mul_f32_e32 v8, v66, v8
	v_mul_f32_e32 v37, v72, v10
	v_fmac_f32_e32 v30, v69, v4
	v_fma_f32 v31, v69, v5, -v31
	v_fmac_f32_e32 v32, v67, v6
	s_waitcnt lgkmcnt(0)
	v_mul_f32_e32 v38, v74, v27
	v_mul_f32_e32 v39, v74, v26
	v_fma_f32 v33, v67, v7, -v33
	v_fma_f32 v8, v65, v9, -v8
	v_fmac_f32_e32 v36, v71, v10
	v_fma_f32 v37, v71, v11, -v37
	v_cvt_f64_f32_e32 v[4:5], v30
	v_cvt_f64_f32_e32 v[6:7], v31
	v_fmac_f32_e32 v38, v73, v26
	v_fma_f32 v39, v73, v27, -v39
	v_cvt_f64_f32_e32 v[30:31], v32
	v_cvt_f64_f32_e32 v[32:33], v33
	;; [unrolled: 1-line block ×8, first 2 shown]
	v_add_co_ci_u32_e32 v17, vcc_lo, s5, v21, vcc_lo
	global_store_dwordx2 v[20:21], v[24:25], off
	global_store_dwordx2 v[16:17], v[14:15], off
	v_cvt_f32_f64_e32 v14, v[18:19]
	v_cvt_f32_f64_e32 v15, v[0:1]
	v_mul_f64 v[0:1], v[22:23], s[0:1]
	v_mul_f64 v[18:19], v[28:29], s[0:1]
	v_cvt_f32_f64_e32 v2, v[2:3]
	v_mul_f64 v[4:5], v[4:5], s[0:1]
	v_mul_f64 v[6:7], v[6:7], s[0:1]
	v_cvt_f32_f64_e32 v3, v[12:13]
	v_add_co_u32 v16, vcc_lo, v16, s4
	v_mul_f64 v[12:13], v[30:31], s[0:1]
	v_mul_f64 v[20:21], v[32:33], s[0:1]
	;; [unrolled: 1-line block ×8, first 2 shown]
	v_add_co_ci_u32_e32 v17, vcc_lo, s5, v17, vcc_lo
	v_add_co_u32 v30, vcc_lo, v16, s4
	v_add_co_ci_u32_e32 v31, vcc_lo, s5, v17, vcc_lo
	v_cvt_f32_f64_e32 v0, v[0:1]
	v_cvt_f32_f64_e32 v1, v[18:19]
	v_add_co_u32 v18, vcc_lo, v30, s4
	v_add_co_ci_u32_e32 v19, vcc_lo, s5, v31, vcc_lo
	v_cvt_f32_f64_e32 v4, v[4:5]
	v_cvt_f32_f64_e32 v5, v[6:7]
	;; [unrolled: 4-line block ×3, first 2 shown]
	v_cvt_f32_f64_e32 v20, v[22:23]
	v_cvt_f32_f64_e32 v21, v[8:9]
	;; [unrolled: 1-line block ×6, first 2 shown]
	v_add_co_u32 v22, vcc_lo, v6, s4
	v_add_co_ci_u32_e32 v23, vcc_lo, s5, v7, vcc_lo
	global_store_dwordx2 v[16:17], v[14:15], off
	v_add_co_u32 v14, vcc_lo, v22, s4
	v_add_co_ci_u32_e32 v15, vcc_lo, s5, v23, vcc_lo
	global_store_dwordx2 v[30:31], v[2:3], off
	;; [unrolled: 3-line block ×4, first 2 shown]
	global_store_dwordx2 v[22:23], v[12:13], off
	global_store_dwordx2 v[14:15], v[20:21], off
	;; [unrolled: 1-line block ×4, first 2 shown]
.LBB0_10:
	s_endpgm
	.section	.rodata,"a",@progbits
	.p2align	6, 0x0
	.amdhsa_kernel bluestein_single_fwd_len578_dim1_sp_op_CI_CI
		.amdhsa_group_segment_fixed_size 32368
		.amdhsa_private_segment_fixed_size 0
		.amdhsa_kernarg_size 104
		.amdhsa_user_sgpr_count 6
		.amdhsa_user_sgpr_private_segment_buffer 1
		.amdhsa_user_sgpr_dispatch_ptr 0
		.amdhsa_user_sgpr_queue_ptr 0
		.amdhsa_user_sgpr_kernarg_segment_ptr 1
		.amdhsa_user_sgpr_dispatch_id 0
		.amdhsa_user_sgpr_flat_scratch_init 0
		.amdhsa_user_sgpr_private_segment_size 0
		.amdhsa_wavefront_size32 1
		.amdhsa_uses_dynamic_stack 0
		.amdhsa_system_sgpr_private_segment_wavefront_offset 0
		.amdhsa_system_sgpr_workgroup_id_x 1
		.amdhsa_system_sgpr_workgroup_id_y 0
		.amdhsa_system_sgpr_workgroup_id_z 0
		.amdhsa_system_sgpr_workgroup_info 0
		.amdhsa_system_vgpr_workitem_id 0
		.amdhsa_next_free_vgpr 230
		.amdhsa_next_free_sgpr 20
		.amdhsa_reserve_vcc 1
		.amdhsa_reserve_flat_scratch 0
		.amdhsa_float_round_mode_32 0
		.amdhsa_float_round_mode_16_64 0
		.amdhsa_float_denorm_mode_32 3
		.amdhsa_float_denorm_mode_16_64 3
		.amdhsa_dx10_clamp 1
		.amdhsa_ieee_mode 1
		.amdhsa_fp16_overflow 0
		.amdhsa_workgroup_processor_mode 1
		.amdhsa_memory_ordered 1
		.amdhsa_forward_progress 0
		.amdhsa_shared_vgpr_count 0
		.amdhsa_exception_fp_ieee_invalid_op 0
		.amdhsa_exception_fp_denorm_src 0
		.amdhsa_exception_fp_ieee_div_zero 0
		.amdhsa_exception_fp_ieee_overflow 0
		.amdhsa_exception_fp_ieee_underflow 0
		.amdhsa_exception_fp_ieee_inexact 0
		.amdhsa_exception_int_div_zero 0
	.end_amdhsa_kernel
	.text
.Lfunc_end0:
	.size	bluestein_single_fwd_len578_dim1_sp_op_CI_CI, .Lfunc_end0-bluestein_single_fwd_len578_dim1_sp_op_CI_CI
                                        ; -- End function
	.section	.AMDGPU.csdata,"",@progbits
; Kernel info:
; codeLenInByte = 25648
; NumSgprs: 22
; NumVgprs: 230
; ScratchSize: 0
; MemoryBound: 0
; FloatMode: 240
; IeeeMode: 1
; LDSByteSize: 32368 bytes/workgroup (compile time only)
; SGPRBlocks: 2
; VGPRBlocks: 28
; NumSGPRsForWavesPerEU: 22
; NumVGPRsForWavesPerEU: 230
; Occupancy: 4
; WaveLimiterHint : 1
; COMPUTE_PGM_RSRC2:SCRATCH_EN: 0
; COMPUTE_PGM_RSRC2:USER_SGPR: 6
; COMPUTE_PGM_RSRC2:TRAP_HANDLER: 0
; COMPUTE_PGM_RSRC2:TGID_X_EN: 1
; COMPUTE_PGM_RSRC2:TGID_Y_EN: 0
; COMPUTE_PGM_RSRC2:TGID_Z_EN: 0
; COMPUTE_PGM_RSRC2:TIDIG_COMP_CNT: 0
	.text
	.p2alignl 6, 3214868480
	.fill 48, 4, 3214868480
	.type	__hip_cuid_bded35411d4daf68,@object ; @__hip_cuid_bded35411d4daf68
	.section	.bss,"aw",@nobits
	.globl	__hip_cuid_bded35411d4daf68
__hip_cuid_bded35411d4daf68:
	.byte	0                               ; 0x0
	.size	__hip_cuid_bded35411d4daf68, 1

	.ident	"AMD clang version 19.0.0git (https://github.com/RadeonOpenCompute/llvm-project roc-6.4.0 25133 c7fe45cf4b819c5991fe208aaa96edf142730f1d)"
	.section	".note.GNU-stack","",@progbits
	.addrsig
	.addrsig_sym __hip_cuid_bded35411d4daf68
	.amdgpu_metadata
---
amdhsa.kernels:
  - .args:
      - .actual_access:  read_only
        .address_space:  global
        .offset:         0
        .size:           8
        .value_kind:     global_buffer
      - .actual_access:  read_only
        .address_space:  global
        .offset:         8
        .size:           8
        .value_kind:     global_buffer
      - .actual_access:  read_only
        .address_space:  global
        .offset:         16
        .size:           8
        .value_kind:     global_buffer
      - .actual_access:  read_only
        .address_space:  global
        .offset:         24
        .size:           8
        .value_kind:     global_buffer
      - .actual_access:  read_only
        .address_space:  global
        .offset:         32
        .size:           8
        .value_kind:     global_buffer
      - .offset:         40
        .size:           8
        .value_kind:     by_value
      - .address_space:  global
        .offset:         48
        .size:           8
        .value_kind:     global_buffer
      - .address_space:  global
        .offset:         56
        .size:           8
        .value_kind:     global_buffer
      - .address_space:  global
        .offset:         64
        .size:           8
        .value_kind:     global_buffer
      - .address_space:  global
        .offset:         72
        .size:           8
        .value_kind:     global_buffer
      - .offset:         80
        .size:           4
        .value_kind:     by_value
      - .address_space:  global
        .offset:         88
        .size:           8
        .value_kind:     global_buffer
      - .address_space:  global
        .offset:         96
        .size:           8
        .value_kind:     global_buffer
    .group_segment_fixed_size: 32368
    .kernarg_segment_align: 8
    .kernarg_segment_size: 104
    .language:       OpenCL C
    .language_version:
      - 2
      - 0
    .max_flat_workgroup_size: 238
    .name:           bluestein_single_fwd_len578_dim1_sp_op_CI_CI
    .private_segment_fixed_size: 0
    .sgpr_count:     22
    .sgpr_spill_count: 0
    .symbol:         bluestein_single_fwd_len578_dim1_sp_op_CI_CI.kd
    .uniform_work_group_size: 1
    .uses_dynamic_stack: false
    .vgpr_count:     230
    .vgpr_spill_count: 0
    .wavefront_size: 32
    .workgroup_processor_mode: 1
amdhsa.target:   amdgcn-amd-amdhsa--gfx1030
amdhsa.version:
  - 1
  - 2
...

	.end_amdgpu_metadata
